;; amdgpu-corpus repo=ROCm/rocFFT kind=compiled arch=gfx950 opt=O3
	.text
	.amdgcn_target "amdgcn-amd-amdhsa--gfx950"
	.amdhsa_code_object_version 6
	.protected	bluestein_single_back_len2023_dim1_dp_op_CI_CI ; -- Begin function bluestein_single_back_len2023_dim1_dp_op_CI_CI
	.globl	bluestein_single_back_len2023_dim1_dp_op_CI_CI
	.p2align	8
	.type	bluestein_single_back_len2023_dim1_dp_op_CI_CI,@function
bluestein_single_back_len2023_dim1_dp_op_CI_CI: ; @bluestein_single_back_len2023_dim1_dp_op_CI_CI
; %bb.0:
	s_load_dwordx4 s[12:15], s[0:1], 0x28
	v_mul_u32_u24_e32 v1, 0x227, v0
	v_add_u32_sdwa v8, s2, v1 dst_sel:DWORD dst_unused:UNUSED_PAD src0_sel:DWORD src1_sel:WORD_1
	v_mov_b32_e32 v9, 0
	s_waitcnt lgkmcnt(0)
	v_cmp_gt_u64_e32 vcc, s[12:13], v[8:9]
	s_and_saveexec_b64 s[2:3], vcc
	s_cbranch_execz .LBB0_10
; %bb.1:
	s_load_dwordx4 s[4:7], s[0:1], 0x18
	s_load_dwordx4 s[8:11], s[0:1], 0x0
	v_mov_b32_e32 v2, s14
	v_mov_b32_e32 v3, s15
	s_movk_i32 s2, 0x77
	s_waitcnt lgkmcnt(0)
	s_load_dwordx4 s[12:15], s[4:5], 0x0
	v_mul_lo_u16_sdwa v1, v1, s2 dst_sel:DWORD dst_unused:UNUSED_PAD src0_sel:WORD_1 src1_sel:DWORD
	v_sub_u16_e32 v132, v0, v1
	v_lshlrev_b32_e32 v32, 4, v132
	v_mov_b32_e32 v33, v9
	s_waitcnt lgkmcnt(0)
	v_mad_u64_u32 v[0:1], s[2:3], s14, v8, 0
	v_mov_b32_e32 v4, v1
	v_mad_u64_u32 v[4:5], s[2:3], s15, v8, v[4:5]
	v_mov_b32_e32 v1, v4
	v_mad_u64_u32 v[4:5], s[2:3], s12, v132, 0
	v_mov_b32_e32 v6, v5
	v_mad_u64_u32 v[6:7], s[2:3], s13, v132, v[6:7]
	s_movk_i32 s2, 0x1000
	v_lshl_add_u64 v[72:73], s[8:9], 0, v[32:33]
	v_lshl_add_u64 v[0:1], v[0:1], 4, v[2:3]
	v_add_co_u32_e32 v2, vcc, s2, v72
	v_mov_b32_e32 v5, v6
	s_movk_i32 s3, 0x2000
	v_addc_co_u32_e32 v3, vcc, 0, v73, vcc
	v_lshl_add_u64 v[0:1], v[4:5], 4, v[0:1]
	v_add_co_u32_e32 v4, vcc, s3, v72
	s_movk_i32 s14, 0x3000
	s_nop 0
	v_addc_co_u32_e32 v5, vcc, 0, v73, vcc
	v_add_co_u32_e32 v6, vcc, s14, v72
	v_mov_b32_e32 v34, 0x770
	s_movk_i32 s15, 0x4000
	v_addc_co_u32_e32 v7, vcc, 0, v73, vcc
	global_load_dwordx4 v[68:71], v[0:1], off
	v_add_co_u32_e32 v40, vcc, s15, v72
	s_mul_i32 s2, s13, 0x770
	v_mad_u64_u32 v[0:1], s[14:15], s12, v34, v[0:1]
	v_add_u32_e32 v1, s2, v1
	global_load_dwordx4 v[44:47], v32, s[8:9]
	s_load_dwordx4 s[4:7], s[6:7], 0x0
	global_load_dwordx4 v[146:149], v32, s[8:9] offset:1904
	global_load_dwordx4 v[142:145], v32, s[8:9] offset:3808
	global_load_dwordx4 v[138:141], v[2:3], off offset:1616
	global_load_dwordx4 v[134:137], v[2:3], off offset:3520
	;; [unrolled: 1-line block ×6, first 2 shown]
	v_mad_u64_u32 v[2:3], s[14:15], s12, v34, v[0:1]
	v_add_u32_e32 v3, s2, v3
	global_load_dwordx4 v[36:39], v[0:1], off
	global_load_dwordx4 v[24:27], v[2:3], off
	v_mad_u64_u32 v[0:1], s[14:15], s12, v34, v[2:3]
	v_add_u32_e32 v1, s2, v1
	v_mad_u64_u32 v[2:3], s[14:15], s12, v34, v[0:1]
	v_add_u32_e32 v3, s2, v3
	global_load_dwordx4 v[28:31], v[0:1], off
	global_load_dwordx4 v[20:23], v[2:3], off
	v_mad_u64_u32 v[0:1], s[14:15], s12, v34, v[2:3]
	v_add_u32_e32 v1, s2, v1
	global_load_dwordx4 v[16:19], v[0:1], off
	v_mad_u64_u32 v[0:1], s[14:15], s12, v34, v[0:1]
	v_add_u32_e32 v1, s2, v1
	;; [unrolled: 3-line block ×3, first 2 shown]
	v_accvgpr_write_b32 a2, v8
	global_load_dwordx4 v[8:11], v[0:1], off
	v_mad_u64_u32 v[0:1], s[14:15], s12, v34, v[0:1]
	v_add_u32_e32 v1, s2, v1
	v_mad_u64_u32 v[42:43], s[14:15], s12, v34, v[0:1]
	v_add_u32_e32 v43, s2, v43
	global_load_dwordx4 v[4:7], v[0:1], off
	v_addc_co_u32_e32 v41, vcc, 0, v73, vcc
	global_load_dwordx4 v[0:3], v[42:43], off
	v_mad_u64_u32 v[42:43], s[14:15], s12, v34, v[42:43]
	v_add_u32_e32 v43, s2, v43
	global_load_dwordx4 v[78:81], v[42:43], off
	global_load_dwordx4 v[110:113], v[40:41], off offset:752
	global_load_dwordx4 v[52:55], v[40:41], off offset:2656
	v_mad_u64_u32 v[40:41], s[14:15], s12, v34, v[42:43]
	v_add_u32_e32 v41, s2, v41
	global_load_dwordx4 v[82:85], v[40:41], off
	s_movk_i32 s3, 0x5000
	v_mad_u64_u32 v[40:41], s[14:15], s12, v34, v[40:41]
	v_add_co_u32_e32 v42, vcc, s3, v72
	v_add_u32_e32 v41, s2, v41
	s_nop 0
	v_addc_co_u32_e32 v43, vcc, 0, v73, vcc
	global_load_dwordx4 v[86:89], v[40:41], off
	global_load_dwordx4 v[114:117], v[42:43], off offset:464
	global_load_dwordx4 v[56:59], v[42:43], off offset:2368
	v_mad_u64_u32 v[40:41], s[14:15], s12, v34, v[40:41]
	v_add_u32_e32 v41, s2, v41
	global_load_dwordx4 v[90:93], v[40:41], off
	s_movk_i32 s3, 0x6000
	v_mad_u64_u32 v[40:41], s[14:15], s12, v34, v[40:41]
	v_add_co_u32_e32 v42, vcc, s3, v72
	v_add_u32_e32 v41, s2, v41
	s_nop 0
	v_addc_co_u32_e32 v43, vcc, 0, v73, vcc
	global_load_dwordx4 v[94:97], v[40:41], off
	global_load_dwordx4 v[122:125], v[42:43], off offset:176
	global_load_dwordx4 v[60:63], v[42:43], off offset:2080
	v_mad_u64_u32 v[40:41], s[14:15], s12, v34, v[40:41]
	v_add_u32_e32 v41, s2, v41
	v_mad_u64_u32 v[34:35], s[12:13], s12, v34, v[40:41]
	v_add_u32_e32 v35, s2, v35
	s_movk_i32 s2, 0x7000
	global_load_dwordx4 v[98:101], v[40:41], off
	global_load_dwordx4 v[64:67], v[42:43], off offset:3984
	global_load_dwordx4 v[102:105], v[34:35], off
	v_add_co_u32_e32 v34, vcc, s2, v72
	s_mov_b32 s18, 0x5d8e7cdc
	s_nop 0
	v_addc_co_u32_e32 v35, vcc, 0, v73, vcc
	global_load_dwordx4 v[40:43], v[34:35], off offset:1792
	s_waitcnt vmcnt(32)
	v_mul_f64 v[34:35], v[68:69], v[46:47]
	v_fma_f64 v[76:77], v[70:71], v[44:45], -v[34:35]
	v_mul_f64 v[74:75], v[70:71], v[46:47]
	s_waitcnt vmcnt(23)
	v_mul_f64 v[34:35], v[38:39], v[148:149]
	v_fmac_f64_e32 v[34:35], v[36:37], v[146:147]
	v_mul_f64 v[36:37], v[36:37], v[148:149]
	v_fma_f64 v[36:37], v[38:39], v[146:147], -v[36:37]
	ds_write_b128 v32, v[34:37] offset:1904
	s_waitcnt vmcnt(22)
	v_mul_f64 v[34:35], v[26:27], v[144:145]
	v_fmac_f64_e32 v[34:35], v[24:25], v[142:143]
	v_mul_f64 v[24:25], v[24:25], v[144:145]
	v_fma_f64 v[36:37], v[26:27], v[142:143], -v[24:25]
	s_waitcnt vmcnt(21)
	v_mul_f64 v[24:25], v[30:31], v[140:141]
	v_mul_f64 v[26:27], v[28:29], v[140:141]
	v_fmac_f64_e32 v[24:25], v[28:29], v[138:139]
	v_fma_f64 v[26:27], v[30:31], v[138:139], -v[26:27]
	ds_write_b128 v32, v[24:27] offset:5712
	s_waitcnt vmcnt(20)
	v_mul_f64 v[24:25], v[22:23], v[136:137]
	v_fmac_f64_e32 v[24:25], v[20:21], v[134:135]
	v_mul_f64 v[20:21], v[20:21], v[136:137]
	v_fma_f64 v[26:27], v[22:23], v[134:135], -v[20:21]
	s_waitcnt vmcnt(19)
	v_mul_f64 v[20:21], v[18:19], v[128:129]
	v_fmac_f64_e32 v[20:21], v[16:17], v[126:127]
	v_mul_f64 v[16:17], v[16:17], v[128:129]
	v_fma_f64 v[22:23], v[18:19], v[126:127], -v[16:17]
	;; [unrolled: 5-line block ×6, first 2 shown]
	s_waitcnt vmcnt(12)
	v_mul_f64 v[0:1], v[80:81], v[54:55]
	v_mul_f64 v[2:3], v[78:79], v[54:55]
	v_fmac_f64_e32 v[0:1], v[78:79], v[52:53]
	v_fma_f64 v[2:3], v[80:81], v[52:53], -v[2:3]
	ds_write_b128 v32, v[0:3] offset:19040
	v_fmac_f64_e32 v[74:75], v[68:69], v[44:45]
	v_accvgpr_write_b32 a44, v118
	v_accvgpr_write_b32 a32, v106
	;; [unrolled: 1-line block ×3, first 2 shown]
	s_waitcnt vmcnt(9)
	v_mul_f64 v[0:1], v[84:85], v[116:117]
	v_mul_f64 v[2:3], v[82:83], v[116:117]
	v_fmac_f64_e32 v[0:1], v[82:83], v[114:115]
	v_fma_f64 v[2:3], v[84:85], v[114:115], -v[2:3]
	ds_write_b128 v32, v[0:3] offset:20944
	s_waitcnt vmcnt(8)
	v_mul_f64 v[0:1], v[88:89], v[58:59]
	v_mul_f64 v[2:3], v[86:87], v[58:59]
	v_fmac_f64_e32 v[0:1], v[86:87], v[56:57]
	v_fma_f64 v[2:3], v[88:89], v[56:57], -v[2:3]
	ds_write_b128 v32, v[0:3] offset:22848
	v_accvgpr_write_b32 a40, v114
	ds_write_b128 v32, v[74:77]
	ds_write_b128 v32, v[34:37] offset:3808
	s_waitcnt vmcnt(5)
	v_mul_f64 v[0:1], v[92:93], v[124:125]
	v_mul_f64 v[2:3], v[90:91], v[124:125]
	v_fmac_f64_e32 v[0:1], v[90:91], v[122:123]
	v_fma_f64 v[2:3], v[92:93], v[122:123], -v[2:3]
	ds_write_b128 v32, v[0:3] offset:24752
	s_waitcnt vmcnt(4)
	v_mul_f64 v[0:1], v[96:97], v[62:63]
	v_mul_f64 v[2:3], v[94:95], v[62:63]
	v_fmac_f64_e32 v[0:1], v[94:95], v[60:61]
	v_fma_f64 v[2:3], v[96:97], v[60:61], -v[2:3]
	ds_write_b128 v32, v[0:3] offset:26656
	s_waitcnt vmcnt(2)
	v_mul_f64 v[0:1], v[100:101], v[66:67]
	v_mul_f64 v[2:3], v[98:99], v[66:67]
	v_fmac_f64_e32 v[0:1], v[98:99], v[64:65]
	v_fma_f64 v[2:3], v[100:101], v[64:65], -v[2:3]
	ds_write_b128 v32, v[0:3] offset:28560
	ds_write_b128 v32, v[24:27] offset:7616
	s_waitcnt vmcnt(0)
	v_mul_f64 v[0:1], v[104:105], v[42:43]
	v_mul_f64 v[2:3], v[102:103], v[42:43]
	v_fmac_f64_e32 v[0:1], v[102:103], v[40:41]
	v_fma_f64 v[2:3], v[104:105], v[40:41], -v[2:3]
	ds_write_b128 v32, v[20:23] offset:9520
	v_accvgpr_write_b32 a45, v119
	v_accvgpr_write_b32 a46, v120
	;; [unrolled: 1-line block ×3, first 2 shown]
	ds_write_b128 v32, v[16:19] offset:11424
	v_accvgpr_write_b32 a33, v107
	v_accvgpr_write_b32 a34, v108
	;; [unrolled: 1-line block ×3, first 2 shown]
	ds_write_b128 v32, v[12:15] offset:13328
	ds_write_b128 v32, v[8:11] offset:15232
	v_accvgpr_write_b32 a37, v111
	v_accvgpr_write_b32 a38, v112
	;; [unrolled: 1-line block ×3, first 2 shown]
	ds_write_b128 v32, v[4:7] offset:17136
	v_accvgpr_write_b32 a41, v115
	v_accvgpr_write_b32 a42, v116
	;; [unrolled: 1-line block ×3, first 2 shown]
	ds_write_b128 v32, v[0:3] offset:30464
	s_waitcnt lgkmcnt(0)
	s_barrier
	ds_read_b128 v[88:91], v32
	ds_read_b128 v[10:13], v32 offset:1904
	ds_read_b128 v[0:3], v32 offset:3808
	;; [unrolled: 1-line block ×16, first 2 shown]
	s_waitcnt lgkmcnt(14)
	v_add_f64 v[8:9], v[88:89], v[10:11]
	v_add_f64 v[18:19], v[90:91], v[12:13]
	;; [unrolled: 1-line block ×4, first 2 shown]
	s_waitcnt lgkmcnt(13)
	v_add_f64 v[8:9], v[8:9], v[116:117]
	v_add_f64 v[18:19], v[18:19], v[118:119]
	s_waitcnt lgkmcnt(12)
	v_add_f64 v[8:9], v[8:9], v[108:109]
	v_add_f64 v[18:19], v[18:19], v[110:111]
	;; [unrolled: 3-line block ×12, first 2 shown]
	s_mov_b32 s2, 0x2a9d6da3
	s_mov_b32 s22, 0x7c9e640b
	;; [unrolled: 1-line block ×7, first 2 shown]
	v_accvgpr_write_b32 a4, v44
	v_accvgpr_write_b32 a28, v40
	s_waitcnt lgkmcnt(1)
	v_add_f64 v[8:9], v[8:9], v[34:35]
	v_add_f64 v[18:19], v[18:19], v[36:37]
	s_waitcnt lgkmcnt(0)
	v_add_f64 v[20:21], v[12:13], -v[16:17]
	s_mov_b32 s19, 0xbfd71e95
	s_mov_b32 s16, 0x370991
	;; [unrolled: 1-line block ×16, first 2 shown]
	v_accvgpr_write_b32 a5, v45
	v_accvgpr_write_b32 a6, v46
	v_accvgpr_write_b32 a7, v47
	v_accvgpr_write_b32 a52, v126
	v_accvgpr_write_b32 a8, v48
	v_accvgpr_write_b32 a12, v52
	v_accvgpr_write_b32 a16, v56
	v_accvgpr_write_b32 a20, v60
	v_accvgpr_write_b32 a24, v64
	v_accvgpr_write_b32 a29, v41
	v_accvgpr_write_b32 a30, v42
	v_accvgpr_write_b32 a31, v43
	v_add_f64 v[68:69], v[8:9], v[14:15]
	v_add_f64 v[70:71], v[18:19], v[16:17]
	;; [unrolled: 1-line block ×4, first 2 shown]
	v_add_f64 v[10:11], v[10:11], -v[14:15]
	v_mul_f64 v[12:13], v[20:21], s[18:19]
	s_mov_b32 s17, 0x3fedd6d0
	v_mul_f64 v[16:17], v[20:21], s[2:3]
	s_mov_b32 s15, 0x3fe7a5f6
	;; [unrolled: 2-line block ×3, first 2 shown]
	v_add_f64 v[30:31], v[0:1], v[34:35]
	v_add_f64 v[0:1], v[0:1], -v[34:35]
	v_mul_f64 v[34:35], v[20:21], s[20:21]
	s_mov_b32 s25, 0x3fb79ee6
	v_mul_f64 v[38:39], v[20:21], s[28:29]
	s_mov_b32 s27, 0xbfd183b1
	s_mov_b32 s31, 0xbfe348c8
	v_mul_f64 v[42:43], v[20:21], s[34:35]
	s_mov_b32 s37, 0xbfeb34fa
	v_mul_f64 v[46:47], v[20:21], s[38:39]
	v_mul_f64 v[20:21], v[20:21], s[42:43]
	s_mov_b32 s41, 0xbfef7484
	v_accvgpr_write_b32 a53, v127
	v_accvgpr_write_b32 a54, v128
	;; [unrolled: 1-line block ×19, first 2 shown]
	v_fma_f64 v[14:15], v[18:19], s[16:17], -v[12:13]
	v_fmac_f64_e32 v[12:13], s[16:17], v[18:19]
	v_fma_f64 v[22:23], v[18:19], s[14:15], -v[16:17]
	v_fmac_f64_e32 v[16:17], s[14:15], v[18:19]
	;; [unrolled: 2-line block ×3, first 2 shown]
	v_add_f64 v[28:29], v[2:3], v[36:37]
	v_add_f64 v[2:3], v[2:3], -v[36:37]
	v_add_f64 v[120:121], v[118:119], v[6:7]
	v_add_f64 v[6:7], v[118:119], -v[6:7]
	;; [unrolled: 2-line block ×5, first 2 shown]
	v_fma_f64 v[36:37], v[18:19], s[24:25], -v[34:35]
	v_fmac_f64_e32 v[34:35], s[24:25], v[18:19]
	v_fma_f64 v[40:41], v[18:19], s[26:27], -v[38:39]
	v_fmac_f64_e32 v[38:39], s[26:27], v[18:19]
	;; [unrolled: 2-line block ×5, first 2 shown]
	v_mul_f64 v[18:19], v[10:11], s[18:19]
	v_mul_f64 v[54:55], v[10:11], s[2:3]
	;; [unrolled: 1-line block ×8, first 2 shown]
	v_accvgpr_write_b32 a49, v123
	v_accvgpr_write_b32 a50, v124
	;; [unrolled: 1-line block ×3, first 2 shown]
	v_add_f64 v[122:123], v[116:117], v[4:5]
	v_add_f64 v[4:5], v[116:117], -v[4:5]
	v_add_f64 v[116:117], v[110:111], v[114:115]
	v_add_f64 v[110:111], v[110:111], -v[114:115]
	;; [unrolled: 2-line block ×4, first 2 shown]
	v_fma_f64 v[52:53], s[16:17], v[8:9], v[18:19]
	v_fma_f64 v[18:19], v[8:9], s[16:17], -v[18:19]
	v_fma_f64 v[56:57], s[14:15], v[8:9], v[54:55]
	v_fma_f64 v[54:55], v[8:9], s[14:15], -v[54:55]
	v_fma_f64 v[60:61], s[12:13], v[8:9], v[58:59]
	v_fma_f64 v[58:59], v[8:9], s[12:13], -v[58:59]
	v_fma_f64 v[64:65], s[24:25], v[8:9], v[62:63]
	v_fma_f64 v[62:63], v[8:9], s[24:25], -v[62:63]
	v_fma_f64 v[96:97], s[26:27], v[8:9], v[66:67]
	v_fma_f64 v[66:67], v[8:9], s[26:27], -v[66:67]
	v_fma_f64 v[124:125], s[30:31], v[8:9], v[98:99]
	v_fma_f64 v[98:99], v[8:9], s[30:31], -v[98:99]
	v_fma_f64 v[128:129], s[36:37], v[8:9], v[126:127]
	v_fma_f64 v[126:127], v[8:9], s[36:37], -v[126:127]
	v_fma_f64 v[130:131], s[40:41], v[8:9], v[10:11]
	v_fma_f64 v[8:9], v[8:9], s[40:41], -v[10:11]
	v_add_f64 v[10:11], v[88:89], v[14:15]
	v_add_f64 v[12:13], v[88:89], v[12:13]
	;; [unrolled: 1-line block ×16, first 2 shown]
	v_mul_f64 v[88:89], v[2:3], s[2:3]
	v_add_f64 v[14:15], v[90:91], v[52:53]
	v_add_f64 v[18:19], v[90:91], v[18:19]
	;; [unrolled: 1-line block ×16, first 2 shown]
	v_fma_f64 v[90:91], v[30:31], s[14:15], -v[88:89]
	v_add_f64 v[10:11], v[90:91], v[10:11]
	v_mul_f64 v[90:91], v[0:1], s[2:3]
	v_fmac_f64_e32 v[88:89], s[14:15], v[30:31]
	v_add_f64 v[12:13], v[88:89], v[12:13]
	v_fma_f64 v[88:89], v[28:29], s[14:15], -v[90:91]
	v_add_f64 v[18:19], v[88:89], v[18:19]
	v_mul_f64 v[88:89], v[2:3], s[20:21]
	v_fma_f64 v[130:131], s[14:15], v[28:29], v[90:91]
	v_fma_f64 v[90:91], v[30:31], s[24:25], -v[88:89]
	v_add_f64 v[22:23], v[90:91], v[22:23]
	v_mul_f64 v[90:91], v[0:1], s[20:21]
	v_fmac_f64_e32 v[88:89], s[24:25], v[30:31]
	v_add_f64 v[16:17], v[88:89], v[16:17]
	v_fma_f64 v[88:89], v[28:29], s[24:25], -v[90:91]
	v_add_f64 v[54:55], v[88:89], v[54:55]
	v_mul_f64 v[88:89], v[2:3], s[34:35]
	v_add_f64 v[14:15], v[130:131], v[14:15]
	v_fma_f64 v[130:131], s[24:25], v[28:29], v[90:91]
	v_fma_f64 v[90:91], v[30:31], s[30:31], -v[88:89]
	v_add_f64 v[26:27], v[90:91], v[26:27]
	v_mul_f64 v[90:91], v[0:1], s[34:35]
	v_fmac_f64_e32 v[88:89], s[30:31], v[30:31]
	v_add_f64 v[24:25], v[88:89], v[24:25]
	v_fma_f64 v[88:89], v[28:29], s[30:31], -v[90:91]
	v_add_f64 v[58:59], v[88:89], v[58:59]
	v_mul_f64 v[88:89], v[2:3], s[42:43]
	v_add_f64 v[52:53], v[130:131], v[52:53]
	v_fma_f64 v[130:131], s[30:31], v[28:29], v[90:91]
	v_fma_f64 v[90:91], v[30:31], s[40:41], -v[88:89]
	v_add_f64 v[36:37], v[90:91], v[36:37]
	v_mul_f64 v[90:91], v[0:1], s[42:43]
	v_fmac_f64_e32 v[88:89], s[40:41], v[30:31]
	v_add_f64 v[34:35], v[88:89], v[34:35]
	v_fma_f64 v[88:89], v[28:29], s[40:41], -v[90:91]
	s_mov_b32 s55, 0x3fe0d888
	s_mov_b32 s54, s38
	v_add_f64 v[62:63], v[88:89], v[62:63]
	v_mul_f64 v[88:89], v[2:3], s[54:55]
	v_add_f64 v[56:57], v[130:131], v[56:57]
	v_fma_f64 v[130:131], s[40:41], v[28:29], v[90:91]
	v_fma_f64 v[90:91], v[30:31], s[36:37], -v[88:89]
	v_add_f64 v[40:41], v[90:91], v[40:41]
	v_mul_f64 v[90:91], v[0:1], s[54:55]
	v_fmac_f64_e32 v[88:89], s[36:37], v[30:31]
	v_add_f64 v[38:39], v[88:89], v[38:39]
	v_fma_f64 v[88:89], v[28:29], s[36:37], -v[90:91]
	s_mov_b32 s51, 0x3feec746
	s_mov_b32 s50, s28
	v_add_f64 v[66:67], v[88:89], v[66:67]
	v_mul_f64 v[88:89], v[2:3], s[50:51]
	v_add_f64 v[60:61], v[130:131], v[60:61]
	v_fma_f64 v[130:131], s[36:37], v[28:29], v[90:91]
	v_fma_f64 v[90:91], v[30:31], s[26:27], -v[88:89]
	v_add_f64 v[44:45], v[90:91], v[44:45]
	v_mul_f64 v[90:91], v[0:1], s[50:51]
	v_fmac_f64_e32 v[88:89], s[26:27], v[30:31]
	s_mov_b32 s45, 0x3feca52d
	s_mov_b32 s44, s22
	v_add_f64 v[64:65], v[130:131], v[64:65]
	v_fma_f64 v[130:131], s[26:27], v[28:29], v[90:91]
	v_add_f64 v[42:43], v[88:89], v[42:43]
	v_fma_f64 v[88:89], v[28:29], s[26:27], -v[90:91]
	v_mul_f64 v[90:91], v[2:3], s[44:45]
	v_add_f64 v[88:89], v[88:89], v[98:99]
	v_fma_f64 v[98:99], v[30:31], s[12:13], -v[90:91]
	s_mov_b32 s47, 0x3fd71e95
	s_mov_b32 s46, s18
	v_add_f64 v[48:49], v[98:99], v[48:49]
	v_mul_f64 v[98:99], v[0:1], s[44:45]
	v_fmac_f64_e32 v[90:91], s[12:13], v[30:31]
	v_mul_f64 v[2:3], v[2:3], s[46:47]
	v_add_f64 v[96:97], v[130:131], v[96:97]
	v_fma_f64 v[130:131], s[12:13], v[28:29], v[98:99]
	v_add_f64 v[46:47], v[90:91], v[46:47]
	v_fma_f64 v[90:91], v[28:29], s[12:13], -v[98:99]
	v_fma_f64 v[98:99], v[30:31], s[16:17], -v[2:3]
	v_mul_f64 v[0:1], v[0:1], s[46:47]
	v_add_f64 v[50:51], v[98:99], v[50:51]
	v_fma_f64 v[98:99], s[16:17], v[28:29], v[0:1]
	v_fma_f64 v[0:1], v[28:29], s[16:17], -v[0:1]
	v_fmac_f64_e32 v[2:3], s[16:17], v[30:31]
	v_add_f64 v[0:1], v[0:1], v[8:9]
	v_mul_f64 v[8:9], v[6:7], s[22:23]
	v_add_f64 v[2:3], v[2:3], v[20:21]
	v_fma_f64 v[20:21], v[122:123], s[12:13], -v[8:9]
	v_add_f64 v[10:11], v[20:21], v[10:11]
	v_mul_f64 v[20:21], v[4:5], s[22:23]
	v_fmac_f64_e32 v[8:9], s[12:13], v[122:123]
	v_add_f64 v[8:9], v[8:9], v[12:13]
	v_fma_f64 v[12:13], v[120:121], s[12:13], -v[20:21]
	v_add_f64 v[12:13], v[12:13], v[18:19]
	v_mul_f64 v[18:19], v[6:7], s[34:35]
	v_fma_f64 v[28:29], s[12:13], v[120:121], v[20:21]
	v_fma_f64 v[20:21], v[122:123], s[30:31], -v[18:19]
	v_add_f64 v[20:21], v[20:21], v[22:23]
	v_mul_f64 v[22:23], v[4:5], s[34:35]
	v_fmac_f64_e32 v[18:19], s[30:31], v[122:123]
	s_mov_b32 s49, 0x3fc7851a
	s_mov_b32 s48, s42
	v_add_f64 v[14:15], v[28:29], v[14:15]
	v_fma_f64 v[28:29], s[30:31], v[120:121], v[22:23]
	v_add_f64 v[16:17], v[18:19], v[16:17]
	v_fma_f64 v[18:19], v[120:121], s[30:31], -v[22:23]
	v_mul_f64 v[22:23], v[6:7], s[48:49]
	v_fma_f64 v[30:31], v[122:123], s[40:41], -v[22:23]
	v_add_f64 v[26:27], v[30:31], v[26:27]
	v_mul_f64 v[30:31], v[4:5], s[48:49]
	v_fmac_f64_e32 v[22:23], s[40:41], v[122:123]
	v_add_f64 v[28:29], v[28:29], v[52:53]
	v_fma_f64 v[52:53], s[40:41], v[120:121], v[30:31]
	v_add_f64 v[22:23], v[22:23], v[24:25]
	v_fma_f64 v[24:25], v[120:121], s[40:41], -v[30:31]
	v_mul_f64 v[30:31], v[6:7], s[50:51]
	v_add_f64 v[18:19], v[18:19], v[54:55]
	v_fma_f64 v[54:55], v[122:123], s[26:27], -v[30:31]
	v_add_f64 v[36:37], v[54:55], v[36:37]
	v_mul_f64 v[54:55], v[4:5], s[50:51]
	v_fmac_f64_e32 v[30:31], s[26:27], v[122:123]
	s_mov_b32 s49, 0x3fe58eea
	s_mov_b32 s48, s2
	v_add_f64 v[52:53], v[52:53], v[56:57]
	v_fma_f64 v[56:57], s[26:27], v[120:121], v[54:55]
	v_add_f64 v[30:31], v[30:31], v[34:35]
	v_fma_f64 v[34:35], v[120:121], s[26:27], -v[54:55]
	v_mul_f64 v[54:55], v[6:7], s[48:49]
	v_add_f64 v[24:25], v[24:25], v[58:59]
	v_fma_f64 v[58:59], v[122:123], s[14:15], -v[54:55]
	v_add_f64 v[40:41], v[58:59], v[40:41]
	v_mul_f64 v[58:59], v[4:5], s[48:49]
	v_fmac_f64_e32 v[54:55], s[14:15], v[122:123]
	v_add_f64 v[56:57], v[56:57], v[60:61]
	v_fma_f64 v[60:61], s[14:15], v[120:121], v[58:59]
	v_add_f64 v[38:39], v[54:55], v[38:39]
	v_fma_f64 v[54:55], v[120:121], s[14:15], -v[58:59]
	v_mul_f64 v[58:59], v[6:7], s[18:19]
	v_add_f64 v[34:35], v[34:35], v[62:63]
	v_fma_f64 v[62:63], v[122:123], s[16:17], -v[58:59]
	v_add_f64 v[44:45], v[62:63], v[44:45]
	v_mul_f64 v[62:63], v[4:5], s[18:19]
	v_fmac_f64_e32 v[58:59], s[16:17], v[122:123]
	;; [unrolled: 10-line block ×3, first 2 shown]
	v_mul_f64 v[6:7], v[6:7], s[38:39]
	v_add_f64 v[58:59], v[58:59], v[88:89]
	v_fma_f64 v[88:89], s[24:25], v[120:121], v[66:67]
	v_add_f64 v[46:47], v[62:63], v[46:47]
	v_fma_f64 v[62:63], v[120:121], s[24:25], -v[66:67]
	v_fma_f64 v[66:67], v[122:123], s[36:37], -v[6:7]
	v_mul_f64 v[4:5], v[4:5], s[38:39]
	v_add_f64 v[50:51], v[66:67], v[50:51]
	v_fma_f64 v[66:67], s[36:37], v[120:121], v[4:5]
	v_fma_f64 v[4:5], v[120:121], s[36:37], -v[4:5]
	v_fmac_f64_e32 v[6:7], s[36:37], v[122:123]
	v_add_f64 v[0:1], v[4:5], v[0:1]
	v_mul_f64 v[4:5], v[110:111], s[20:21]
	v_add_f64 v[2:3], v[6:7], v[2:3]
	v_fma_f64 v[6:7], v[118:119], s[24:25], -v[4:5]
	v_add_f64 v[90:91], v[90:91], v[126:127]
	v_add_f64 v[6:7], v[6:7], v[10:11]
	v_mul_f64 v[10:11], v[108:109], s[20:21]
	v_fmac_f64_e32 v[4:5], s[24:25], v[118:119]
	v_add_f64 v[62:63], v[62:63], v[90:91]
	v_fma_f64 v[90:91], s[24:25], v[116:117], v[10:11]
	v_add_f64 v[4:5], v[4:5], v[8:9]
	v_fma_f64 v[8:9], v[116:117], s[24:25], -v[10:11]
	v_mul_f64 v[10:11], v[110:111], s[42:43]
	v_add_f64 v[8:9], v[8:9], v[12:13]
	v_fma_f64 v[12:13], v[118:119], s[40:41], -v[10:11]
	v_add_f64 v[12:13], v[12:13], v[20:21]
	v_mul_f64 v[20:21], v[108:109], s[42:43]
	v_fmac_f64_e32 v[10:11], s[40:41], v[118:119]
	v_add_f64 v[10:11], v[10:11], v[16:17]
	v_fma_f64 v[16:17], v[116:117], s[40:41], -v[20:21]
	v_add_f64 v[16:17], v[16:17], v[18:19]
	v_mul_f64 v[18:19], v[110:111], s[50:51]
	v_add_f64 v[14:15], v[90:91], v[14:15]
	v_fma_f64 v[90:91], s[40:41], v[116:117], v[20:21]
	v_fma_f64 v[20:21], v[118:119], s[26:27], -v[18:19]
	v_add_f64 v[20:21], v[20:21], v[26:27]
	v_mul_f64 v[26:27], v[108:109], s[50:51]
	v_fmac_f64_e32 v[18:19], s[26:27], v[118:119]
	v_add_f64 v[18:19], v[18:19], v[22:23]
	v_fma_f64 v[22:23], v[116:117], s[26:27], -v[26:27]
	v_add_f64 v[22:23], v[22:23], v[24:25]
	v_mul_f64 v[24:25], v[110:111], s[46:47]
	v_add_f64 v[28:29], v[90:91], v[28:29]
	v_fma_f64 v[90:91], s[26:27], v[116:117], v[26:27]
	;; [unrolled: 10-line block ×3, first 2 shown]
	v_fma_f64 v[36:37], v[118:119], s[12:13], -v[34:35]
	v_add_f64 v[36:37], v[36:37], v[40:41]
	v_mul_f64 v[40:41], v[108:109], s[22:23]
	v_fmac_f64_e32 v[34:35], s[12:13], v[118:119]
	v_add_f64 v[56:57], v[90:91], v[56:57]
	v_fma_f64 v[90:91], s[12:13], v[116:117], v[40:41]
	v_add_f64 v[34:35], v[34:35], v[38:39]
	v_fma_f64 v[38:39], v[116:117], s[12:13], -v[40:41]
	v_mul_f64 v[40:41], v[110:111], s[38:39]
	v_add_f64 v[38:39], v[38:39], v[54:55]
	v_fma_f64 v[54:55], v[118:119], s[36:37], -v[40:41]
	v_add_f64 v[44:45], v[54:55], v[44:45]
	v_mul_f64 v[54:55], v[108:109], s[38:39]
	v_fmac_f64_e32 v[40:41], s[36:37], v[118:119]
	s_mov_b32 s53, 0x3fe9895b
	s_mov_b32 s52, s34
	v_add_f64 v[60:61], v[90:91], v[60:61]
	v_fma_f64 v[90:91], s[36:37], v[116:117], v[54:55]
	v_add_f64 v[40:41], v[40:41], v[42:43]
	v_fma_f64 v[42:43], v[116:117], s[36:37], -v[54:55]
	v_mul_f64 v[54:55], v[110:111], s[52:53]
	v_add_f64 v[42:43], v[42:43], v[58:59]
	v_fma_f64 v[58:59], v[118:119], s[30:31], -v[54:55]
	v_add_f64 v[64:65], v[64:65], v[96:97]
	v_add_f64 v[48:49], v[58:59], v[48:49]
	v_mul_f64 v[58:59], v[108:109], s[52:53]
	v_fmac_f64_e32 v[54:55], s[30:31], v[118:119]
	v_add_f64 v[64:65], v[90:91], v[64:65]
	v_fma_f64 v[90:91], s[30:31], v[116:117], v[58:59]
	v_add_f64 v[46:47], v[54:55], v[46:47]
	v_fma_f64 v[54:55], v[116:117], s[30:31], -v[58:59]
	v_mul_f64 v[58:59], v[110:111], s[48:49]
	v_add_f64 v[54:55], v[54:55], v[62:63]
	v_fma_f64 v[62:63], v[118:119], s[14:15], -v[58:59]
	v_add_f64 v[50:51], v[62:63], v[50:51]
	v_mul_f64 v[62:63], v[108:109], s[48:49]
	v_fmac_f64_e32 v[58:59], s[14:15], v[118:119]
	v_add_f64 v[124:125], v[130:131], v[124:125]
	v_add_f64 v[2:3], v[58:59], v[2:3]
	v_fma_f64 v[58:59], v[116:117], s[14:15], -v[62:63]
	v_add_f64 v[88:89], v[88:89], v[124:125]
	v_add_f64 v[0:1], v[58:59], v[0:1]
	v_mul_f64 v[58:59], v[106:107], s[28:29]
	v_add_f64 v[88:89], v[90:91], v[88:89]
	v_fma_f64 v[90:91], s[14:15], v[116:117], v[62:63]
	v_fma_f64 v[62:63], v[114:115], s[26:27], -v[58:59]
	v_add_f64 v[6:7], v[62:63], v[6:7]
	v_mul_f64 v[62:63], v[100:101], s[28:29]
	v_fmac_f64_e32 v[58:59], s[26:27], v[114:115]
	v_add_f64 v[98:99], v[98:99], v[128:129]
	v_add_f64 v[4:5], v[58:59], v[4:5]
	v_fma_f64 v[58:59], v[112:113], s[26:27], -v[62:63]
	v_add_f64 v[66:67], v[66:67], v[98:99]
	v_add_f64 v[8:9], v[58:59], v[8:9]
	v_mul_f64 v[58:59], v[106:107], s[54:55]
	v_add_f64 v[66:67], v[90:91], v[66:67]
	v_fma_f64 v[90:91], s[26:27], v[112:113], v[62:63]
	v_fma_f64 v[62:63], v[114:115], s[36:37], -v[58:59]
	v_add_f64 v[12:13], v[62:63], v[12:13]
	v_mul_f64 v[62:63], v[100:101], s[54:55]
	v_fmac_f64_e32 v[58:59], s[36:37], v[114:115]
	v_add_f64 v[10:11], v[58:59], v[10:11]
	v_fma_f64 v[58:59], v[112:113], s[36:37], -v[62:63]
	v_add_f64 v[16:17], v[58:59], v[16:17]
	v_mul_f64 v[58:59], v[106:107], s[48:49]
	v_add_f64 v[14:15], v[90:91], v[14:15]
	v_fma_f64 v[90:91], s[36:37], v[112:113], v[62:63]
	v_fma_f64 v[62:63], v[114:115], s[14:15], -v[58:59]
	v_add_f64 v[20:21], v[62:63], v[20:21]
	v_mul_f64 v[62:63], v[100:101], s[48:49]
	v_fmac_f64_e32 v[58:59], s[14:15], v[114:115]
	v_add_f64 v[18:19], v[58:59], v[18:19]
	v_fma_f64 v[58:59], v[112:113], s[14:15], -v[62:63]
	;; [unrolled: 10-line block ×4, first 2 shown]
	s_mov_b32 s23, 0x3fefdd0d
	s_mov_b32 s22, s20
	v_add_f64 v[38:39], v[58:59], v[38:39]
	v_mul_f64 v[58:59], v[106:107], s[22:23]
	v_add_f64 v[56:57], v[90:91], v[56:57]
	v_fma_f64 v[90:91], s[40:41], v[112:113], v[62:63]
	v_fma_f64 v[62:63], v[114:115], s[24:25], -v[58:59]
	v_add_f64 v[44:45], v[62:63], v[44:45]
	v_mul_f64 v[62:63], v[100:101], s[22:23]
	v_fmac_f64_e32 v[58:59], s[24:25], v[114:115]
	v_add_f64 v[40:41], v[58:59], v[40:41]
	v_fma_f64 v[58:59], v[112:113], s[24:25], -v[62:63]
	v_add_f64 v[42:43], v[58:59], v[42:43]
	v_mul_f64 v[58:59], v[106:107], s[18:19]
	v_add_f64 v[60:61], v[90:91], v[60:61]
	v_fma_f64 v[90:91], s[24:25], v[112:113], v[62:63]
	v_fma_f64 v[62:63], v[114:115], s[16:17], -v[58:59]
	v_add_f64 v[48:49], v[62:63], v[48:49]
	v_mul_f64 v[62:63], v[100:101], s[18:19]
	v_fmac_f64_e32 v[58:59], s[16:17], v[114:115]
	v_add_f64 v[46:47], v[58:59], v[46:47]
	v_fma_f64 v[58:59], v[112:113], s[16:17], -v[62:63]
	v_add_f64 v[54:55], v[58:59], v[54:55]
	v_mul_f64 v[58:59], v[106:107], s[34:35]
	v_add_f64 v[64:65], v[90:91], v[64:65]
	v_fma_f64 v[90:91], s[16:17], v[112:113], v[62:63]
	v_fma_f64 v[62:63], v[114:115], s[30:31], -v[58:59]
	v_add_f64 v[50:51], v[62:63], v[50:51]
	v_mul_f64 v[62:63], v[100:101], s[34:35]
	v_fmac_f64_e32 v[58:59], s[30:31], v[114:115]
	v_add_f64 v[2:3], v[58:59], v[2:3]
	v_fma_f64 v[58:59], v[112:113], s[30:31], -v[62:63]
	v_add_f64 v[0:1], v[58:59], v[0:1]
	v_mul_f64 v[58:59], v[94:95], s[34:35]
	v_add_f64 v[88:89], v[90:91], v[88:89]
	v_fma_f64 v[90:91], s[30:31], v[112:113], v[62:63]
	v_fma_f64 v[62:63], v[104:105], s[30:31], -v[58:59]
	v_add_f64 v[6:7], v[62:63], v[6:7]
	v_mul_f64 v[62:63], v[92:93], s[34:35]
	v_fmac_f64_e32 v[58:59], s[30:31], v[104:105]
	v_add_f64 v[4:5], v[58:59], v[4:5]
	v_fma_f64 v[58:59], v[102:103], s[30:31], -v[62:63]
	v_add_f64 v[8:9], v[58:59], v[8:9]
	v_mul_f64 v[58:59], v[94:95], s[50:51]
	v_add_f64 v[66:67], v[90:91], v[66:67]
	v_fma_f64 v[90:91], s[30:31], v[102:103], v[62:63]
	v_fma_f64 v[62:63], v[104:105], s[26:27], -v[58:59]
	v_add_f64 v[12:13], v[62:63], v[12:13]
	v_mul_f64 v[62:63], v[92:93], s[50:51]
	v_fmac_f64_e32 v[58:59], s[26:27], v[104:105]
	v_add_f64 v[10:11], v[58:59], v[10:11]
	v_fma_f64 v[58:59], v[102:103], s[26:27], -v[62:63]
	v_add_f64 v[16:17], v[58:59], v[16:17]
	v_mul_f64 v[58:59], v[94:95], s[18:19]
	v_add_f64 v[14:15], v[90:91], v[14:15]
	v_fma_f64 v[90:91], s[26:27], v[102:103], v[62:63]
	v_fma_f64 v[62:63], v[104:105], s[16:17], -v[58:59]
	v_add_f64 v[20:21], v[62:63], v[20:21]
	v_mul_f64 v[62:63], v[92:93], s[18:19]
	v_fmac_f64_e32 v[58:59], s[16:17], v[104:105]
	v_add_f64 v[18:19], v[58:59], v[18:19]
	v_fma_f64 v[58:59], v[102:103], s[16:17], -v[62:63]
	v_add_f64 v[22:23], v[58:59], v[22:23]
	v_mul_f64 v[58:59], v[94:95], s[38:39]
	v_add_f64 v[28:29], v[90:91], v[28:29]
	v_fma_f64 v[90:91], s[16:17], v[102:103], v[62:63]
	v_fma_f64 v[62:63], v[104:105], s[36:37], -v[58:59]
	v_add_f64 v[26:27], v[62:63], v[26:27]
	v_mul_f64 v[62:63], v[92:93], s[38:39]
	v_fmac_f64_e32 v[58:59], s[36:37], v[104:105]
	v_add_f64 v[24:25], v[58:59], v[24:25]
	v_fma_f64 v[58:59], v[102:103], s[36:37], -v[62:63]
	v_add_f64 v[30:31], v[58:59], v[30:31]
	v_mul_f64 v[58:59], v[94:95], s[22:23]
	v_add_f64 v[52:53], v[90:91], v[52:53]
	v_fma_f64 v[90:91], s[36:37], v[102:103], v[62:63]
	v_fma_f64 v[62:63], v[104:105], s[24:25], -v[58:59]
	v_add_f64 v[36:37], v[62:63], v[36:37]
	v_mul_f64 v[62:63], v[92:93], s[22:23]
	v_fmac_f64_e32 v[58:59], s[24:25], v[104:105]
	v_add_f64 v[34:35], v[58:59], v[34:35]
	v_fma_f64 v[58:59], v[102:103], s[24:25], -v[62:63]
	v_add_f64 v[38:39], v[58:59], v[38:39]
	v_mul_f64 v[58:59], v[94:95], s[2:3]
	v_add_f64 v[56:57], v[90:91], v[56:57]
	v_fma_f64 v[90:91], s[24:25], v[102:103], v[62:63]
	v_fma_f64 v[62:63], v[104:105], s[14:15], -v[58:59]
	v_add_f64 v[44:45], v[62:63], v[44:45]
	v_mul_f64 v[62:63], v[92:93], s[2:3]
	v_fmac_f64_e32 v[58:59], s[14:15], v[104:105]
	v_add_f64 v[40:41], v[58:59], v[40:41]
	v_fma_f64 v[58:59], v[102:103], s[14:15], -v[62:63]
	v_add_f64 v[42:43], v[58:59], v[42:43]
	v_mul_f64 v[58:59], v[94:95], s[42:43]
	v_add_f64 v[60:61], v[90:91], v[60:61]
	v_fma_f64 v[90:91], s[14:15], v[102:103], v[62:63]
	v_fma_f64 v[62:63], v[104:105], s[40:41], -v[58:59]
	v_add_f64 v[48:49], v[62:63], v[48:49]
	v_mul_f64 v[62:63], v[92:93], s[42:43]
	v_fmac_f64_e32 v[58:59], s[40:41], v[104:105]
	v_add_f64 v[46:47], v[58:59], v[46:47]
	v_fma_f64 v[58:59], v[102:103], s[40:41], -v[62:63]
	v_add_f64 v[54:55], v[58:59], v[54:55]
	v_mul_f64 v[58:59], v[94:95], s[44:45]
	v_add_f64 v[64:65], v[90:91], v[64:65]
	v_fma_f64 v[90:91], s[40:41], v[102:103], v[62:63]
	v_fma_f64 v[62:63], v[104:105], s[12:13], -v[58:59]
	v_add_f64 v[50:51], v[62:63], v[50:51]
	v_mul_f64 v[62:63], v[92:93], s[44:45]
	v_fmac_f64_e32 v[58:59], s[12:13], v[104:105]
	v_add_f64 v[88:89], v[90:91], v[88:89]
	v_fma_f64 v[90:91], s[12:13], v[102:103], v[62:63]
	v_add_f64 v[2:3], v[58:59], v[2:3]
	v_fma_f64 v[58:59], v[102:103], s[12:13], -v[62:63]
	v_add_f64 v[62:63], v[82:83], v[86:87]
	v_add_f64 v[82:83], v[82:83], -v[86:87]
	v_add_f64 v[0:1], v[58:59], v[0:1]
	v_add_f64 v[58:59], v[80:81], v[84:85]
	v_add_f64 v[80:81], v[80:81], -v[84:85]
	v_mul_f64 v[84:85], v[82:83], s[38:39]
	v_fma_f64 v[86:87], v[58:59], s[36:37], -v[84:85]
	v_add_f64 v[6:7], v[86:87], v[6:7]
	v_mul_f64 v[86:87], v[80:81], s[38:39]
	v_fmac_f64_e32 v[84:85], s[36:37], v[58:59]
	v_add_f64 v[4:5], v[84:85], v[4:5]
	v_fma_f64 v[84:85], v[62:63], s[36:37], -v[86:87]
	v_add_f64 v[8:9], v[84:85], v[8:9]
	v_mul_f64 v[84:85], v[82:83], s[44:45]
	v_add_f64 v[66:67], v[90:91], v[66:67]
	v_fma_f64 v[90:91], s[36:37], v[62:63], v[86:87]
	v_fma_f64 v[86:87], v[58:59], s[12:13], -v[84:85]
	v_add_f64 v[12:13], v[86:87], v[12:13]
	v_mul_f64 v[86:87], v[80:81], s[44:45]
	v_fmac_f64_e32 v[84:85], s[12:13], v[58:59]
	v_add_f64 v[10:11], v[84:85], v[10:11]
	v_fma_f64 v[84:85], v[62:63], s[12:13], -v[86:87]
	v_add_f64 v[16:17], v[84:85], v[16:17]
	v_mul_f64 v[84:85], v[82:83], s[20:21]
	v_add_f64 v[14:15], v[90:91], v[14:15]
	v_fma_f64 v[90:91], s[12:13], v[62:63], v[86:87]
	v_fma_f64 v[86:87], v[58:59], s[24:25], -v[84:85]
	v_add_f64 v[20:21], v[86:87], v[20:21]
	v_mul_f64 v[86:87], v[80:81], s[20:21]
	v_fmac_f64_e32 v[84:85], s[24:25], v[58:59]
	v_add_f64 v[18:19], v[84:85], v[18:19]
	v_fma_f64 v[84:85], v[62:63], s[24:25], -v[86:87]
	v_add_f64 v[22:23], v[84:85], v[22:23]
	v_mul_f64 v[84:85], v[82:83], s[52:53]
	v_add_f64 v[28:29], v[90:91], v[28:29]
	v_fma_f64 v[90:91], s[24:25], v[62:63], v[86:87]
	v_fma_f64 v[86:87], v[58:59], s[30:31], -v[84:85]
	v_add_f64 v[26:27], v[86:87], v[26:27]
	v_mul_f64 v[86:87], v[80:81], s[52:53]
	v_fmac_f64_e32 v[84:85], s[30:31], v[58:59]
	v_add_f64 v[24:25], v[84:85], v[24:25]
	v_fma_f64 v[84:85], v[62:63], s[30:31], -v[86:87]
	v_add_f64 v[30:31], v[84:85], v[30:31]
	v_mul_f64 v[84:85], v[82:83], s[18:19]
	v_add_f64 v[52:53], v[90:91], v[52:53]
	v_fma_f64 v[90:91], s[30:31], v[62:63], v[86:87]
	v_fma_f64 v[86:87], v[58:59], s[16:17], -v[84:85]
	v_add_f64 v[36:37], v[86:87], v[36:37]
	v_mul_f64 v[86:87], v[80:81], s[18:19]
	v_fmac_f64_e32 v[84:85], s[16:17], v[58:59]
	v_add_f64 v[34:35], v[84:85], v[34:35]
	v_fma_f64 v[84:85], v[62:63], s[16:17], -v[86:87]
	v_add_f64 v[38:39], v[84:85], v[38:39]
	v_mul_f64 v[84:85], v[82:83], s[42:43]
	v_add_f64 v[56:57], v[90:91], v[56:57]
	v_fma_f64 v[90:91], s[16:17], v[62:63], v[86:87]
	v_fma_f64 v[86:87], v[58:59], s[40:41], -v[84:85]
	v_add_f64 v[44:45], v[86:87], v[44:45]
	v_mul_f64 v[86:87], v[80:81], s[42:43]
	v_fmac_f64_e32 v[84:85], s[40:41], v[58:59]
	v_add_f64 v[40:41], v[84:85], v[40:41]
	v_fma_f64 v[84:85], v[62:63], s[40:41], -v[86:87]
	v_add_f64 v[42:43], v[84:85], v[42:43]
	v_mul_f64 v[84:85], v[82:83], s[48:49]
	v_add_f64 v[60:61], v[90:91], v[60:61]
	v_fma_f64 v[90:91], s[40:41], v[62:63], v[86:87]
	v_fma_f64 v[86:87], v[58:59], s[14:15], -v[84:85]
	v_add_f64 v[48:49], v[86:87], v[48:49]
	v_mul_f64 v[86:87], v[80:81], s[48:49]
	v_fmac_f64_e32 v[84:85], s[14:15], v[58:59]
	v_add_f64 v[46:47], v[84:85], v[46:47]
	v_fma_f64 v[84:85], v[62:63], s[14:15], -v[86:87]
	v_mul_f64 v[82:83], v[82:83], s[28:29]
	v_add_f64 v[54:55], v[84:85], v[54:55]
	v_fma_f64 v[84:85], v[58:59], s[26:27], -v[82:83]
	v_mul_f64 v[80:81], v[80:81], s[28:29]
	v_fmac_f64_e32 v[82:83], s[26:27], v[58:59]
	v_add_f64 v[64:65], v[90:91], v[64:65]
	v_fma_f64 v[90:91], s[14:15], v[62:63], v[86:87]
	v_add_f64 v[50:51], v[84:85], v[50:51]
	v_fma_f64 v[84:85], s[26:27], v[62:63], v[80:81]
	v_add_f64 v[58:59], v[82:83], v[2:3]
	v_fma_f64 v[2:3], v[62:63], s[26:27], -v[80:81]
	v_add_f64 v[80:81], v[74:75], -v[78:79]
	v_add_f64 v[88:89], v[90:91], v[88:89]
	v_add_f64 v[90:91], v[72:73], v[76:77]
	v_add_f64 v[82:83], v[72:73], -v[76:77]
	v_mul_f64 v[72:73], v[80:81], s[42:43]
	v_add_f64 v[62:63], v[2:3], v[0:1]
	v_fma_f64 v[0:1], v[90:91], s[40:41], -v[72:73]
	v_add_f64 v[92:93], v[74:75], v[78:79]
	v_add_f64 v[0:1], v[0:1], v[6:7]
	v_mul_f64 v[6:7], v[82:83], s[42:43]
	v_fmac_f64_e32 v[72:73], s[40:41], v[90:91]
	v_add_f64 v[66:67], v[84:85], v[66:67]
	v_add_f64 v[84:85], v[72:73], v[4:5]
	v_fma_f64 v[4:5], v[92:93], s[40:41], -v[6:7]
	v_add_f64 v[86:87], v[4:5], v[8:9]
	v_mul_f64 v[8:9], v[80:81], s[46:47]
	v_fma_f64 v[4:5], v[90:91], s[16:17], -v[8:9]
	v_accvgpr_write_b32 a56, v134
	v_add_f64 v[4:5], v[4:5], v[12:13]
	v_mul_f64 v[12:13], v[82:83], s[46:47]
	v_fmac_f64_e32 v[8:9], s[16:17], v[90:91]
	v_accvgpr_write_b32 a60, v138
	v_accvgpr_write_b32 a57, v135
	v_accvgpr_write_b32 a58, v136
	v_accvgpr_write_b32 a59, v137
	v_fma_f64 v[2:3], s[40:41], v[92:93], v[6:7]
	v_fma_f64 v[6:7], s[16:17], v[92:93], v[12:13]
	v_add_f64 v[136:137], v[8:9], v[10:11]
	v_fma_f64 v[8:9], v[92:93], s[16:17], -v[12:13]
	v_mul_f64 v[12:13], v[80:81], s[38:39]
	v_accvgpr_write_b32 a61, v139
	v_accvgpr_write_b32 a62, v140
	;; [unrolled: 1-line block ×3, first 2 shown]
	v_add_f64 v[2:3], v[2:3], v[14:15]
	v_add_f64 v[138:139], v[8:9], v[16:17]
	v_fma_f64 v[8:9], v[90:91], s[36:37], -v[12:13]
	v_mul_f64 v[14:15], v[82:83], s[38:39]
	v_fmac_f64_e32 v[12:13], s[36:37], v[90:91]
	v_accvgpr_write_b32 a64, v142
	v_add_f64 v[140:141], v[12:13], v[18:19]
	v_fma_f64 v[12:13], v[92:93], s[36:37], -v[14:15]
	v_mul_f64 v[16:17], v[80:81], s[48:49]
	v_accvgpr_write_b32 a65, v143
	v_accvgpr_write_b32 a66, v144
	;; [unrolled: 1-line block ×3, first 2 shown]
	v_add_f64 v[142:143], v[12:13], v[22:23]
	v_fma_f64 v[12:13], v[90:91], s[14:15], -v[16:17]
	v_fmac_f64_e32 v[16:17], s[14:15], v[90:91]
	v_add_f64 v[16:17], v[16:17], v[24:25]
	v_mul_f64 v[24:25], v[80:81], s[34:35]
	v_add_f64 v[8:9], v[8:9], v[20:21]
	v_add_f64 v[12:13], v[12:13], v[26:27]
	v_fma_f64 v[20:21], v[90:91], s[30:31], -v[24:25]
	v_mul_f64 v[26:27], v[82:83], s[34:35]
	v_fmac_f64_e32 v[24:25], s[30:31], v[90:91]
	v_fma_f64 v[22:23], s[30:31], v[92:93], v[26:27]
	v_add_f64 v[24:25], v[24:25], v[34:35]
	v_fma_f64 v[26:27], v[92:93], s[30:31], -v[26:27]
	v_mul_f64 v[34:35], v[80:81], s[44:45]
	v_add_f64 v[6:7], v[6:7], v[28:29]
	v_mul_f64 v[18:19], v[82:83], s[48:49]
	v_add_f64 v[26:27], v[26:27], v[38:39]
	v_fma_f64 v[28:29], v[90:91], s[12:13], -v[34:35]
	v_mul_f64 v[38:39], v[82:83], s[44:45]
	v_fmac_f64_e32 v[34:35], s[12:13], v[90:91]
	v_fma_f64 v[10:11], s[36:37], v[92:93], v[14:15]
	v_fma_f64 v[14:15], s[14:15], v[92:93], v[18:19]
	v_fma_f64 v[18:19], v[92:93], s[14:15], -v[18:19]
	v_add_f64 v[20:21], v[20:21], v[36:37]
	v_add_f64 v[36:37], v[34:35], v[40:41]
	v_fma_f64 v[34:35], v[92:93], s[12:13], -v[38:39]
	v_add_f64 v[18:19], v[18:19], v[30:31]
	v_fma_f64 v[30:31], s[12:13], v[92:93], v[38:39]
	v_add_f64 v[38:39], v[34:35], v[42:43]
	v_mul_f64 v[34:35], v[80:81], s[28:29]
	v_fma_f64 v[40:41], v[90:91], s[26:27], -v[34:35]
	v_add_f64 v[72:73], v[40:41], v[48:49]
	v_mul_f64 v[40:41], v[82:83], s[28:29]
	v_fmac_f64_e32 v[34:35], s[26:27], v[90:91]
	v_add_f64 v[76:77], v[34:35], v[46:47]
	v_fma_f64 v[34:35], v[92:93], s[26:27], -v[40:41]
	v_add_f64 v[78:79], v[34:35], v[54:55]
	v_mul_f64 v[34:35], v[80:81], s[22:23]
	v_fma_f64 v[42:43], s[26:27], v[92:93], v[40:41]
	v_fma_f64 v[40:41], v[90:91], s[24:25], -v[34:35]
	v_add_f64 v[80:81], v[40:41], v[50:51]
	v_mul_f64 v[40:41], v[82:83], s[22:23]
	v_fmac_f64_e32 v[34:35], s[24:25], v[90:91]
	v_add_f64 v[74:75], v[42:43], v[88:89]
	v_fma_f64 v[42:43], s[24:25], v[92:93], v[40:41]
	v_add_f64 v[88:89], v[34:35], v[58:59]
	v_fma_f64 v[34:35], v[92:93], s[24:25], -v[40:41]
	v_mul_lo_u16_e32 v33, 17, v132
	v_accvgpr_write_b32 a68, v146
	v_add_f64 v[10:11], v[10:11], v[52:53]
	v_add_f64 v[14:15], v[14:15], v[56:57]
	;; [unrolled: 1-line block ×4, first 2 shown]
	v_lshlrev_b32_e32 v35, 4, v33
	v_accvgpr_write_b32 a69, v147
	v_accvgpr_write_b32 a70, v148
	;; [unrolled: 1-line block ×3, first 2 shown]
	v_add_f64 v[22:23], v[22:23], v[60:61]
	v_add_f64 v[28:29], v[28:29], v[44:45]
	;; [unrolled: 1-line block ×3, first 2 shown]
	s_barrier
	ds_write_b128 v35, v[68:71]
	ds_write_b128 v35, v[0:3] offset:16
	ds_write_b128 v35, v[4:7] offset:32
	;; [unrolled: 1-line block ×16, first 2 shown]
	s_waitcnt lgkmcnt(0)
	s_barrier
	ds_read_b128 v[148:151], v32
	ds_read_b128 v[144:147], v32 offset:1904
	ds_read_b128 v[112:115], v32 offset:4624
	;; [unrolled: 1-line block ×13, first 2 shown]
	s_load_dwordx2 s[2:3], s[0:1], 0x38
	v_accvgpr_write_b32 a0, v132
	v_cmp_gt_u16_e32 vcc, 51, v132
                                        ; implicit-def: $vgpr160_vgpr161
                                        ; implicit-def: $vgpr164_vgpr165
                                        ; implicit-def: $vgpr152_vgpr153
                                        ; implicit-def: $vgpr156_vgpr157
	s_and_saveexec_b64 s[0:1], vcc
	s_cbranch_execz .LBB0_3
; %bb.2:
	ds_read_b128 v[140:143], v32 offset:3808
	ds_read_b128 v[136:139], v32 offset:8432
	;; [unrolled: 1-line block ×7, first 2 shown]
.LBB0_3:
	s_or_b64 exec, exec, s[0:1]
	s_movk_i32 s0, 0xf1
	v_accvgpr_read_b32 v38, a0
	v_mul_lo_u16_sdwa v16, v38, s0 dst_sel:DWORD dst_unused:UNUSED_PAD src0_sel:BYTE_0 src1_sel:DWORD
	v_lshrrev_b16_e32 v33, 12, v16
	v_mul_lo_u16_e32 v16, 17, v33
	v_sub_u16_e32 v16, v38, v16
	v_and_b32_e32 v34, 0xff, v16
	v_mul_u32_u24_e32 v16, 6, v34
	v_lshlrev_b32_e32 v18, 4, v16
	global_load_dwordx4 v[88:91], v18, s[10:11] offset:48
	global_load_dwordx4 v[92:95], v18, s[10:11] offset:32
	global_load_dwordx4 v[104:107], v18, s[10:11] offset:16
	global_load_dwordx4 v[116:119], v18, s[10:11]
	s_mov_b32 s12, 0x37e14327
	s_mov_b32 s16, 0xe976ee23
	;; [unrolled: 1-line block ×18, first 2 shown]
	v_mul_u32_u24_e32 v33, 0x77, v33
	v_add_lshl_u32 v34, v33, v34, 4
	s_waitcnt vmcnt(3) lgkmcnt(0)
	v_mul_f64 v[178:179], v[12:13], v[90:91]
	s_waitcnt vmcnt(2)
	v_mul_f64 v[174:175], v[100:101], v[94:95]
	v_fmac_f64_e32 v[174:175], v[102:103], v[92:93]
	s_waitcnt vmcnt(0)
	v_mul_f64 v[16:17], v[114:115], v[118:119]
	v_fma_f64 v[28:29], v[112:113], v[116:117], -v[16:17]
	v_mul_f64 v[16:17], v[110:111], v[106:107]
	v_mul_f64 v[30:31], v[112:113], v[118:119]
	v_fma_f64 v[168:169], v[108:109], v[104:105], -v[16:17]
	v_mul_f64 v[16:17], v[102:103], v[94:95]
	v_fmac_f64_e32 v[30:31], v[114:115], v[116:117]
	v_fma_f64 v[172:173], v[100:101], v[92:93], -v[16:17]
	global_load_dwordx4 v[100:103], v18, s[10:11] offset:80
	global_load_dwordx4 v[112:115], v18, s[10:11] offset:64
	v_mul_f64 v[16:17], v[14:15], v[90:91]
	v_fma_f64 v[176:177], v[12:13], v[88:89], -v[16:17]
	v_mul_f64 v[170:171], v[108:109], v[106:107]
	v_fmac_f64_e32 v[170:171], v[110:111], v[104:105]
	v_fmac_f64_e32 v[178:179], v[14:15], v[88:89]
	s_waitcnt vmcnt(1)
	v_mul_f64 v[186:187], v[80:81], v[102:103]
	s_waitcnt vmcnt(0)
	v_mul_f64 v[12:13], v[98:99], v[114:115]
	v_fma_f64 v[180:181], v[96:97], v[112:113], -v[12:13]
	v_mul_f64 v[12:13], v[82:83], v[102:103]
	v_fma_f64 v[184:185], v[80:81], v[100:101], -v[12:13]
	v_add_u16_e32 v12, 0x77, v38
	v_mul_lo_u16_sdwa v13, v12, s0 dst_sel:DWORD dst_unused:UNUSED_PAD src0_sel:BYTE_0 src1_sel:DWORD
	v_lshrrev_b16_e32 v36, 12, v13
	v_mul_lo_u16_e32 v13, 17, v36
	v_sub_u16_e32 v12, v12, v13
	v_and_b32_e32 v37, 0xff, v12
	v_mul_u32_u24_e32 v12, 6, v37
	v_mul_f64 v[182:183], v[96:97], v[114:115]
	v_lshlrev_b32_e32 v26, 4, v12
	v_fmac_f64_e32 v[182:183], v[98:99], v[112:113]
	global_load_dwordx4 v[96:99], v26, s[10:11] offset:48
	global_load_dwordx4 v[108:111], v26, s[10:11] offset:32
	;; [unrolled: 1-line block ×3, first 2 shown]
	global_load_dwordx4 v[132:135], v26, s[10:11]
	global_load_dwordx4 v[120:123], v26, s[10:11] offset:80
	global_load_dwordx4 v[128:131], v26, s[10:11] offset:64
	v_fmac_f64_e32 v[186:187], v[82:83], v[100:101]
	s_mov_b32 s0, 0x36b3c0b5
	s_mov_b32 s1, 0x3fac98ee
	s_waitcnt vmcnt(5)
	v_mul_f64 v[24:25], v[10:11], v[98:99]
	v_fma_f64 v[24:25], v[8:9], v[96:97], -v[24:25]
	v_mul_f64 v[8:9], v[8:9], v[98:99]
	v_fmac_f64_e32 v[8:9], v[10:11], v[96:97]
	s_waitcnt vmcnt(0)
	v_mul_f64 v[10:11], v[6:7], v[130:131]
	v_fma_f64 v[10:11], v[4:5], v[128:129], -v[10:11]
	v_mul_f64 v[4:5], v[4:5], v[130:131]
	v_fmac_f64_e32 v[4:5], v[6:7], v[128:129]
	v_mul_f64 v[6:7], v[2:3], v[122:123]
	v_fma_f64 v[6:7], v[0:1], v[120:121], -v[6:7]
	v_mul_f64 v[26:27], v[0:1], v[122:123]
	v_add_u16_e32 v0, 0xee, v38
	v_mul_u32_u24_e32 v1, 0xf0f1, v0
	v_lshrrev_b32_e32 v1, 20, v1
	v_accvgpr_write_b32 a1, v1
	v_mul_lo_u16_e32 v1, 17, v1
	v_sub_u16_e32 v0, v0, v1
	v_accvgpr_write_b32 a3, v0
	v_mul_lo_u16_e32 v0, 6, v0
	v_fmac_f64_e32 v[26:27], v[2:3], v[120:121]
	v_lshlrev_b32_e32 v2, 4, v0
	global_load_dwordx4 v[38:41], v2, s[10:11] offset:48
	global_load_dwordx4 v[42:45], v2, s[10:11] offset:32
	;; [unrolled: 1-line block ×3, first 2 shown]
	global_load_dwordx4 v[50:53], v2, s[10:11]
	v_mul_f64 v[20:21], v[70:71], v[110:111]
	v_fma_f64 v[20:21], v[68:69], v[108:109], -v[20:21]
	v_mul_f64 v[22:23], v[68:69], v[110:111]
	v_fmac_f64_e32 v[22:23], v[70:71], v[108:109]
	v_mul_f64 v[12:13], v[78:79], v[134:135]
	v_mul_f64 v[14:15], v[76:77], v[134:135]
	;; [unrolled: 1-line block ×3, first 2 shown]
	v_fma_f64 v[12:13], v[76:77], v[132:133], -v[12:13]
	v_fmac_f64_e32 v[14:15], v[78:79], v[132:133]
	v_fma_f64 v[16:17], v[72:73], v[124:125], -v[16:17]
	v_mul_f64 v[18:19], v[72:73], v[126:127]
	v_fmac_f64_e32 v[18:19], v[74:75], v[124:125]
	s_waitcnt vmcnt(3)
	v_accvgpr_write_b32 a75, v41
	v_accvgpr_write_b32 a74, v40
	;; [unrolled: 1-line block ×3, first 2 shown]
	s_waitcnt vmcnt(0)
	v_mul_f64 v[0:1], v[138:139], v[52:53]
	v_fma_f64 v[188:189], v[136:137], v[50:51], -v[0:1]
	v_mul_f64 v[0:1], v[86:87], v[48:49]
	v_fma_f64 v[192:193], v[84:85], v[46:47], -v[0:1]
	;; [unrolled: 2-line block ×3, first 2 shown]
	v_mul_f64 v[160:161], v[160:161], v[44:45]
	v_mul_f64 v[0:1], v[166:167], v[40:41]
	;; [unrolled: 1-line block ×3, first 2 shown]
	v_fmac_f64_e32 v[160:161], v[162:163], v[42:43]
	v_fma_f64 v[162:163], v[164:165], v[38:39], -v[0:1]
	v_mul_f64 v[164:165], v[164:165], v[40:41]
	v_fmac_f64_e32 v[190:191], v[138:139], v[50:51]
	v_accvgpr_write_b32 a72, v38
	v_fmac_f64_e32 v[164:165], v[166:167], v[38:39]
	global_load_dwordx4 v[38:41], v2, s[10:11] offset:80
	global_load_dwordx4 v[136:139], v2, s[10:11] offset:64
	v_accvgpr_write_b32 a87, v53
	v_mul_f64 v[194:195], v[84:85], v[48:49]
	v_accvgpr_write_b32 a83, v49
	v_accvgpr_write_b32 a79, v45
	;; [unrolled: 1-line block ×8, first 2 shown]
	v_fmac_f64_e32 v[194:195], v[86:87], v[46:47]
	v_accvgpr_write_b32 a78, v44
	v_accvgpr_write_b32 a77, v43
	;; [unrolled: 1-line block ×3, first 2 shown]
	v_add_f64 v[2:3], v[30:31], v[186:187]
	v_add_f64 v[42:43], v[168:169], -v[180:181]
	v_add_f64 v[46:47], v[172:173], v[176:177]
	v_add_f64 v[50:51], v[176:177], -v[172:173]
	v_add_f64 v[44:45], v[170:171], -v[182:183]
	v_add_f64 v[48:49], v[174:175], v[178:179]
	v_add_f64 v[52:53], v[178:179], -v[174:175]
	v_add_f64 v[30:31], v[30:31], -v[186:187]
	;; [unrolled: 1-line block ×5, first 2 shown]
	v_mul_f64 v[66:67], v[66:67], s[16:17]
	v_mul_f64 v[68:69], v[68:69], s[16:17]
	s_barrier
	s_waitcnt vmcnt(1)
	v_accvgpr_write_b32 a91, v41
	s_waitcnt vmcnt(0)
	v_mul_f64 v[0:1], v[154:155], v[138:139]
	v_fma_f64 v[166:167], v[152:153], v[136:137], -v[0:1]
	v_mul_f64 v[152:153], v[152:153], v[138:139]
	v_mul_f64 v[0:1], v[158:159], v[40:41]
	v_fmac_f64_e32 v[152:153], v[154:155], v[136:137]
	v_fma_f64 v[154:155], v[156:157], v[38:39], -v[0:1]
	v_mul_f64 v[156:157], v[156:157], v[40:41]
	v_accvgpr_write_b32 a90, v40
	v_accvgpr_write_b32 a89, v39
	;; [unrolled: 1-line block ×3, first 2 shown]
	v_fmac_f64_e32 v[156:157], v[158:159], v[38:39]
	v_add_f64 v[0:1], v[28:29], v[184:185]
	v_add_f64 v[38:39], v[168:169], v[180:181]
	;; [unrolled: 1-line block ×4, first 2 shown]
	v_add_f64 v[28:29], v[28:29], -v[184:185]
	v_add_f64 v[56:57], v[40:41], v[2:3]
	v_add_f64 v[58:59], v[38:39], -v[0:1]
	v_add_f64 v[62:63], v[0:1], -v[46:47]
	v_add_f64 v[38:39], v[46:47], -v[38:39]
	v_add_f64 v[0:1], v[50:51], v[42:43]
	v_add_f64 v[46:47], v[46:47], v[54:55]
	v_add_f64 v[60:61], v[40:41], -v[2:3]
	v_add_f64 v[40:41], v[48:49], -v[40:41]
	v_add_f64 v[2:3], v[52:53], v[44:45]
	v_add_f64 v[50:51], v[28:29], -v[50:51]
	v_add_f64 v[42:43], v[42:43], -v[28:29]
	v_add_f64 v[48:49], v[48:49], v[56:57]
	v_add_f64 v[28:29], v[0:1], v[28:29]
	;; [unrolled: 1-line block ×3, first 2 shown]
	v_add_f64 v[52:53], v[30:31], -v[52:53]
	v_add_f64 v[44:45], v[44:45], -v[30:31]
	v_add_f64 v[30:31], v[2:3], v[30:31]
	v_add_f64 v[2:3], v[150:151], v[48:49]
	v_mov_b64_e32 v[150:151], v[0:1]
	v_mul_f64 v[54:55], v[62:63], s[12:13]
	v_mul_f64 v[56:57], v[64:65], s[12:13]
	;; [unrolled: 1-line block ×5, first 2 shown]
	v_fmac_f64_e32 v[150:151], s[18:19], v[46:47]
	v_mov_b64_e32 v[46:47], v[2:3]
	v_mul_f64 v[148:149], v[44:45], s[14:15]
	v_fmac_f64_e32 v[46:47], s[18:19], v[48:49]
	v_fma_f64 v[48:49], v[58:59], s[20:21], -v[62:63]
	v_fma_f64 v[62:63], v[60:61], s[20:21], -v[64:65]
	;; [unrolled: 1-line block ×3, first 2 shown]
	v_fmac_f64_e32 v[54:55], s[0:1], v[38:39]
	v_fma_f64 v[38:39], v[60:61], s[22:23], -v[56:57]
	v_fmac_f64_e32 v[56:57], s[0:1], v[40:41]
	v_fma_f64 v[40:41], v[42:43], s[14:15], -v[66:67]
	v_fma_f64 v[42:43], v[44:45], s[14:15], -v[68:69]
	;; [unrolled: 1-line block ×3, first 2 shown]
	v_fmac_f64_e32 v[66:67], s[24:25], v[50:51]
	v_fmac_f64_e32 v[68:69], s[24:25], v[52:53]
	v_fma_f64 v[50:51], v[52:53], s[28:29], -v[148:149]
	v_add_f64 v[52:53], v[54:55], v[150:151]
	v_add_f64 v[54:55], v[56:57], v[46:47]
	;; [unrolled: 1-line block ×4, first 2 shown]
	v_fmac_f64_e32 v[40:41], s[26:27], v[28:29]
	v_fmac_f64_e32 v[44:45], s[26:27], v[28:29]
	v_add_f64 v[48:49], v[48:49], v[150:151]
	v_add_f64 v[58:59], v[58:59], v[150:151]
	v_add_f64 v[150:151], v[38:39], -v[44:45]
	v_add_f64 v[170:171], v[40:41], v[56:57]
	v_add_f64 v[174:175], v[56:57], -v[40:41]
	v_add_f64 v[178:179], v[44:45], v[38:39]
	v_add_f64 v[38:39], v[12:13], v[6:7]
	;; [unrolled: 1-line block ×3, first 2 shown]
	v_add_f64 v[6:7], v[12:13], -v[6:7]
	v_add_f64 v[12:13], v[14:15], -v[26:27]
	v_add_f64 v[14:15], v[16:17], v[10:11]
	v_fmac_f64_e32 v[42:43], s[26:27], v[30:31]
	v_add_f64 v[26:27], v[18:19], v[4:5]
	v_add_f64 v[10:11], v[16:17], -v[10:11]
	v_add_f64 v[4:5], v[18:19], -v[4:5]
	v_add_f64 v[16:17], v[20:21], v[24:25]
	v_add_f64 v[18:19], v[22:23], v[8:9]
	v_add_f64 v[8:9], v[8:9], -v[22:23]
	v_add_f64 v[22:23], v[14:15], v[38:39]
	v_add_f64 v[168:169], v[48:49], -v[42:43]
	;; [unrolled: 2-line block ×4, first 2 shown]
	v_add_f64 v[38:39], v[38:39], -v[16:17]
	v_add_f64 v[14:15], v[16:17], -v[14:15]
	v_add_f64 v[16:17], v[16:17], v[22:23]
	v_fmac_f64_e32 v[50:51], s[26:27], v[30:31]
	v_add_f64 v[44:45], v[26:27], -v[40:41]
	v_add_f64 v[40:41], v[40:41], -v[18:19]
	;; [unrolled: 1-line block ×3, first 2 shown]
	v_add_f64 v[26:27], v[20:21], v[10:11]
	v_add_f64 v[18:19], v[18:19], v[24:25]
	;; [unrolled: 1-line block ×3, first 2 shown]
	v_fmac_f64_e32 v[66:67], s[26:27], v[28:29]
	v_fmac_f64_e32 v[68:69], s[26:27], v[30:31]
	v_add_f64 v[148:149], v[50:51], v[58:59]
	v_add_f64 v[176:177], v[58:59], -v[50:51]
	v_add_f64 v[50:51], v[20:21], -v[10:11]
	;; [unrolled: 1-line block ×4, first 2 shown]
	v_add_f64 v[6:7], v[26:27], v[6:7]
	v_add_f64 v[26:27], v[146:147], v[18:19]
	v_mov_b64_e32 v[58:59], v[24:25]
	v_add_f64 v[28:29], v[68:69], v[52:53]
	v_add_f64 v[30:31], v[54:55], -v[66:67]
	v_add_f64 v[198:199], v[52:53], -v[68:69]
	v_add_f64 v[200:201], v[66:67], v[54:55]
	v_add_f64 v[48:49], v[8:9], v[4:5]
	v_add_f64 v[52:53], v[8:9], -v[4:5]
	v_mul_f64 v[22:23], v[38:39], s[12:13]
	v_mul_f64 v[38:39], v[40:41], s[12:13]
	;; [unrolled: 1-line block ×5, first 2 shown]
	v_fmac_f64_e32 v[58:59], s[18:19], v[16:17]
	v_mov_b64_e32 v[16:17], v[26:27]
	v_add_f64 v[8:9], v[12:13], -v[8:9]
	v_add_f64 v[4:5], v[4:5], -v[12:13]
	v_add_f64 v[12:13], v[48:49], v[12:13]
	v_mul_f64 v[48:49], v[46:47], s[0:1]
	v_mul_f64 v[52:53], v[52:53], s[16:17]
	v_fmac_f64_e32 v[16:17], s[18:19], v[18:19]
	v_fma_f64 v[18:19], v[42:43], s[20:21], -v[40:41]
	v_fma_f64 v[42:43], v[42:43], s[22:23], -v[22:23]
	v_fmac_f64_e32 v[22:23], s[0:1], v[14:15]
	v_fma_f64 v[14:15], v[44:45], s[22:23], -v[38:39]
	v_fma_f64 v[10:11], v[10:11], s[14:15], -v[50:51]
	v_fmac_f64_e32 v[50:51], s[24:25], v[20:21]
	v_fma_f64 v[20:21], v[20:21], s[28:29], -v[54:55]
	v_mul_f64 v[56:57], v[4:5], s[14:15]
	v_fma_f64 v[40:41], v[44:45], s[20:21], -v[48:49]
	v_fmac_f64_e32 v[38:39], s[0:1], v[46:47]
	v_fma_f64 v[4:5], v[4:5], s[14:15], -v[52:53]
	v_fmac_f64_e32 v[52:53], s[24:25], v[8:9]
	v_add_f64 v[14:15], v[14:15], v[16:17]
	v_fmac_f64_e32 v[20:21], s[26:27], v[6:7]
	v_fma_f64 v[8:9], v[8:9], s[28:29], -v[56:57]
	v_add_f64 v[22:23], v[22:23], v[58:59]
	v_add_f64 v[38:39], v[38:39], v[16:17]
	;; [unrolled: 1-line block ×4, first 2 shown]
	v_fmac_f64_e32 v[50:51], s[26:27], v[6:7]
	v_fmac_f64_e32 v[52:53], s[26:27], v[12:13]
	;; [unrolled: 1-line block ×4, first 2 shown]
	v_add_f64 v[204:205], v[14:15], -v[20:21]
	v_add_f64 v[216:217], v[20:21], v[14:15]
	v_add_f64 v[6:7], v[190:191], v[156:157]
	;; [unrolled: 1-line block ×4, first 2 shown]
	v_fmac_f64_e32 v[8:9], s[26:27], v[12:13]
	v_add_f64 v[144:145], v[52:53], v[22:23]
	v_add_f64 v[146:147], v[38:39], -v[50:51]
	v_add_f64 v[206:207], v[18:19], -v[4:5]
	v_add_f64 v[208:209], v[10:11], v[40:41]
	v_add_f64 v[210:211], v[4:5], v[18:19]
	v_add_f64 v[212:213], v[40:41], -v[10:11]
	v_add_f64 v[218:219], v[22:23], -v[52:53]
	v_add_f64 v[220:221], v[50:51], v[38:39]
	v_add_f64 v[4:5], v[188:189], v[154:155]
	;; [unrolled: 1-line block ×3, first 2 shown]
	v_add_f64 v[16:17], v[192:193], -v[166:167]
	v_add_f64 v[18:19], v[194:195], -v[152:153]
	v_add_f64 v[20:21], v[196:197], v[162:163]
	v_add_f64 v[22:23], v[160:161], v[164:165]
	v_add_f64 v[38:39], v[162:163], -v[196:197]
	v_add_f64 v[40:41], v[164:165], -v[160:161]
	v_add_f64 v[44:45], v[14:15], v[6:7]
	v_add_f64 v[202:203], v[8:9], v[42:43]
	v_add_f64 v[214:215], v[42:43], -v[8:9]
	v_add_f64 v[8:9], v[188:189], -v[154:155]
	v_add_f64 v[10:11], v[190:191], -v[156:157]
	v_add_f64 v[42:43], v[12:13], v[4:5]
	v_add_f64 v[46:47], v[12:13], -v[4:5]
	v_add_f64 v[48:49], v[14:15], -v[6:7]
	;; [unrolled: 1-line block ×6, first 2 shown]
	v_add_f64 v[6:7], v[40:41], v[18:19]
	v_add_f64 v[54:55], v[38:39], -v[16:17]
	v_add_f64 v[22:23], v[22:23], v[44:45]
	v_add_f64 v[4:5], v[38:39], v[16:17]
	v_add_f64 v[56:57], v[40:41], -v[18:19]
	v_add_f64 v[38:39], v[8:9], -v[38:39]
	;; [unrolled: 1-line block ×5, first 2 shown]
	v_add_f64 v[20:21], v[20:21], v[42:43]
	v_add_f64 v[44:45], v[6:7], v[10:11]
	;; [unrolled: 1-line block ×3, first 2 shown]
	v_mul_f64 v[10:11], v[50:51], s[12:13]
	v_mul_f64 v[50:51], v[52:53], s[12:13]
	;; [unrolled: 1-line block ×5, first 2 shown]
	v_add_f64 v[42:43], v[4:5], v[8:9]
	v_add_f64 v[4:5], v[140:141], v[20:21]
	v_mul_f64 v[8:9], v[56:57], s[16:17]
	v_mul_f64 v[60:61], v[18:19], s[14:15]
	v_fma_f64 v[22:23], s[18:19], v[22:23], v[6:7]
	v_fma_f64 v[12:13], s[0:1], v[12:13], v[10:11]
	v_fma_f64 v[52:53], v[46:47], s[20:21], -v[52:53]
	v_fma_f64 v[58:59], v[48:49], s[20:21], -v[58:59]
	;; [unrolled: 1-line block ×3, first 2 shown]
	v_fma_f64 v[10:11], s[24:25], v[38:39], v[54:55]
	v_fma_f64 v[54:55], v[16:17], s[14:15], -v[54:55]
	v_mul_f64 v[56:57], v[16:17], s[14:15]
	v_fma_f64 v[20:21], s[18:19], v[20:21], v[4:5]
	v_fma_f64 v[62:63], v[18:19], s[14:15], -v[8:9]
	v_fmac_f64_e32 v[8:9], s[24:25], v[40:41]
	v_fma_f64 v[16:17], v[40:41], s[28:29], -v[60:61]
	v_add_f64 v[40:41], v[58:59], v[22:23]
	v_fmac_f64_e32 v[54:55], s[26:27], v[42:43]
	v_fma_f64 v[48:49], v[48:49], s[22:23], -v[50:51]
	v_fmac_f64_e32 v[50:51], s[0:1], v[14:15]
	v_fma_f64 v[18:19], v[38:39], s[28:29], -v[56:57]
	v_add_f64 v[38:39], v[52:53], v[20:21]
	v_fmac_f64_e32 v[8:9], s[26:27], v[44:45]
	v_fmac_f64_e32 v[62:63], s[26:27], v[44:45]
	;; [unrolled: 1-line block ×3, first 2 shown]
	v_add_f64 v[44:45], v[54:55], v[40:41]
	v_add_f64 v[40:41], v[40:41], -v[54:55]
	v_add_f64 v[14:15], v[50:51], v[22:23]
	v_add_f64 v[22:23], v[48:49], v[22:23]
	v_fmac_f64_e32 v[10:11], s[26:27], v[42:43]
	v_fmac_f64_e32 v[18:19], s[26:27], v[42:43]
	v_add_f64 v[42:43], v[38:39], -v[62:63]
	v_add_f64 v[38:39], v[62:63], v[38:39]
	v_accvgpr_write_b32 a99, v41
	v_add_f64 v[12:13], v[12:13], v[20:21]
	v_add_f64 v[20:21], v[46:47], v[20:21]
	v_accvgpr_write_b32 a98, v40
	v_accvgpr_write_b32 a97, v39
	;; [unrolled: 1-line block ×3, first 2 shown]
	v_add_f64 v[40:41], v[18:19], v[22:23]
	v_add_f64 v[38:39], v[20:21], -v[16:17]
	v_accvgpr_write_b32 a103, v41
	v_accvgpr_write_b32 a102, v40
	;; [unrolled: 1-line block ×4, first 2 shown]
	v_add_f64 v[40:41], v[10:11], v[14:15]
	v_accvgpr_write_b32 a95, v45
	v_add_f64 v[38:39], v[12:13], -v[8:9]
	v_accvgpr_write_b32 a107, v41
	ds_write_b128 v34, v[0:3]
	ds_write_b128 v34, v[28:31] offset:272
	ds_write_b128 v34, v[148:151] offset:544
	;; [unrolled: 1-line block ×6, first 2 shown]
	v_mul_u32_u24_e32 v0, 0x77, v36
	v_accvgpr_write_b32 a94, v44
	v_accvgpr_write_b32 a93, v43
	;; [unrolled: 1-line block ×6, first 2 shown]
	v_add_lshl_u32 v36, v0, v37, 4
	ds_write_b128 v36, v[24:27]
	ds_write_b128 v36, v[144:147] offset:272
	ds_write_b128 v36, v[202:205] offset:544
	;; [unrolled: 1-line block ×6, first 2 shown]
	s_and_saveexec_b64 s[0:1], vcc
	s_cbranch_execz .LBB0_5
; %bb.4:
	v_add_f64 v[8:9], v[8:9], v[12:13]
	s_movk_i32 s12, 0x77
	v_accvgpr_read_b32 v12, a1
	v_accvgpr_read_b32 v13, a3
	v_mad_legacy_u16 v12, v12, s12, v13
	v_lshlrev_b32_e32 v12, 4, v12
	v_add_f64 v[2:3], v[22:23], -v[18:19]
	v_add_f64 v[0:1], v[16:17], v[20:21]
	v_add_f64 v[10:11], v[14:15], -v[10:11]
	ds_write_b128 v12, v[4:7]
	ds_write_b128 v12, v[8:11] offset:272
	ds_write_b128 v12, v[0:3] offset:544
	;; [unrolled: 1-line block ×6, first 2 shown]
.LBB0_5:
	s_or_b64 exec, exec, s[0:1]
	v_accvgpr_read_b32 v0, a0
	v_lshlrev_b32_e32 v0, 8, v0
	s_waitcnt lgkmcnt(0)
	s_barrier
	global_load_dwordx4 v[152:155], v0, s[10:11] offset:1632
	global_load_dwordx4 v[148:151], v0, s[10:11] offset:1648
	;; [unrolled: 1-line block ×16, first 2 shown]
	ds_read_b128 v[0:3], v32
	ds_read_b128 v[8:11], v32 offset:1904
	ds_read_b128 v[18:21], v32 offset:3808
	;; [unrolled: 1-line block ×16, first 2 shown]
	v_mov_b32_e32 v33, 0
	v_lshl_add_u64 v[16:17], s[8:9], 0, v[32:33]
	s_mov_b32 s24, 0x5d8e7cdc
	s_mov_b32 s18, 0x2a9d6da3
	;; [unrolled: 1-line block ×44, first 2 shown]
	s_movk_i32 s0, 0x7000
	s_waitcnt vmcnt(15) lgkmcnt(14)
	v_mul_f64 v[254:255], v[8:9], v[154:155]
	v_mul_f64 v[70:71], v[10:11], v[154:155]
	s_waitcnt vmcnt(14)
	v_mul_f64 v[246:247], v[18:19], v[150:151]
	v_fmac_f64_e32 v[254:255], v[10:11], v[152:153]
	v_mul_f64 v[228:229], v[20:21], v[150:151]
	s_waitcnt vmcnt(13) lgkmcnt(13)
	v_mul_f64 v[238:239], v[26:27], v[146:147]
	v_fma_f64 v[70:71], v[8:9], v[152:153], -v[70:71]
	v_fmac_f64_e32 v[246:247], v[20:21], v[148:149]
	v_mul_f64 v[232:233], v[28:29], v[146:147]
	s_waitcnt vmcnt(12) lgkmcnt(12)
	v_mul_f64 v[230:231], v[220:221], v[142:143]
	s_waitcnt vmcnt(5) lgkmcnt(5)
	v_mul_f64 v[24:25], v[46:47], v[194:195]
	v_mul_f64 v[86:87], v[48:49], v[194:195]
	v_fmac_f64_e32 v[24:25], v[48:49], v[192:193]
	v_add_f64 v[48:49], v[2:3], v[254:255]
	v_fma_f64 v[248:249], v[18:19], v[148:149], -v[228:229]
	v_fmac_f64_e32 v[238:239], v[28:29], v[144:145]
	v_fma_f64 v[28:29], v[46:47], v[192:193], -v[86:87]
	v_add_f64 v[46:47], v[0:1], v[70:71]
	v_add_f64 v[48:49], v[48:49], v[246:247]
	v_mul_f64 v[72:73], v[222:223], v[142:143]
	v_mul_f64 v[30:31], v[224:225], v[178:179]
	v_fma_f64 v[240:241], v[26:27], v[144:145], -v[232:233]
	v_fmac_f64_e32 v[230:231], v[222:223], v[140:141]
	v_add_f64 v[46:47], v[46:47], v[248:249]
	v_add_f64 v[48:49], v[48:49], v[238:239]
	v_mul_f64 v[74:75], v[226:227], v[178:179]
	v_mul_f64 v[22:23], v[234:235], v[174:175]
	v_fma_f64 v[232:233], v[220:221], v[140:141], -v[72:73]
	v_fmac_f64_e32 v[30:31], v[226:227], v[176:177]
	;; [unrolled: 6-line block ×6, first 2 shown]
	v_add_f64 v[46:47], v[46:47], v[18:19]
	v_add_f64 v[48:49], v[48:49], v[4:5]
	v_mul_f64 v[84:85], v[44:45], v[198:199]
	v_fma_f64 v[10:11], v[38:39], v[200:201], -v[82:83]
	v_fmac_f64_e32 v[14:15], v[44:45], v[196:197]
	v_add_f64 v[46:47], v[46:47], v[8:9]
	v_add_f64 v[48:49], v[48:49], v[6:7]
	v_fma_f64 v[20:21], v[42:43], v[196:197], -v[84:85]
	s_waitcnt vmcnt(4) lgkmcnt(4)
	v_mul_f64 v[228:229], v[50:51], v[190:191]
	v_add_f64 v[46:47], v[46:47], v[10:11]
	v_add_f64 v[48:49], v[48:49], v[14:15]
	v_mul_f64 v[38:39], v[52:53], v[190:191]
	v_fmac_f64_e32 v[228:229], v[52:53], v[188:189]
	s_waitcnt vmcnt(3) lgkmcnt(3)
	v_mul_f64 v[236:237], v[54:55], v[218:219]
	v_add_f64 v[46:47], v[46:47], v[20:21]
	v_add_f64 v[48:49], v[48:49], v[24:25]
	v_fma_f64 v[226:227], v[50:51], v[188:189], -v[38:39]
	v_mul_f64 v[38:39], v[56:57], v[218:219]
	v_fmac_f64_e32 v[236:237], v[56:57], v[216:217]
	s_waitcnt vmcnt(2) lgkmcnt(2)
	v_mul_f64 v[244:245], v[58:59], v[214:215]
	v_add_f64 v[46:47], v[46:47], v[28:29]
	v_add_f64 v[48:49], v[48:49], v[228:229]
	v_fma_f64 v[234:235], v[54:55], v[216:217], -v[38:39]
	;; [unrolled: 7-line block ×4, first 2 shown]
	v_mul_f64 v[42:43], v[68:69], v[206:207]
	v_fmac_f64_e32 v[44:45], v[68:69], v[204:205]
	v_add_f64 v[46:47], v[46:47], v[242:243]
	v_add_f64 v[48:49], v[48:49], v[40:41]
	v_fma_f64 v[42:43], v[66:67], v[204:205], -v[42:43]
	v_add_f64 v[46:47], v[46:47], v[38:39]
	v_add_f64 v[222:223], v[48:49], v[44:45]
	;; [unrolled: 1-line block ×3, first 2 shown]
	v_add_f64 v[44:45], v[254:255], -v[44:45]
	v_add_f64 v[220:221], v[46:47], v[42:43]
	v_add_f64 v[46:47], v[70:71], v[42:43]
	v_add_f64 v[42:43], v[70:71], -v[42:43]
	v_mul_f64 v[50:51], v[44:45], s[24:25]
	v_mul_f64 v[58:59], v[44:45], s[18:19]
	;; [unrolled: 1-line block ×8, first 2 shown]
	v_fma_f64 v[52:53], v[46:47], s[26:27], -v[50:51]
	v_mul_f64 v[54:55], v[42:43], s[24:25]
	v_fmac_f64_e32 v[50:51], s[26:27], v[46:47]
	v_fma_f64 v[60:61], v[46:47], s[20:21], -v[58:59]
	v_mul_f64 v[62:63], v[42:43], s[18:19]
	v_fmac_f64_e32 v[58:59], s[20:21], v[46:47]
	;; [unrolled: 3-line block ×8, first 2 shown]
	v_add_f64 v[52:53], v[0:1], v[52:53]
	v_fma_f64 v[56:57], s[26:27], v[48:49], v[54:55]
	v_add_f64 v[50:51], v[0:1], v[50:51]
	v_fma_f64 v[54:55], v[48:49], s[26:27], -v[54:55]
	v_add_f64 v[60:61], v[0:1], v[60:61]
	v_fma_f64 v[64:65], s[20:21], v[48:49], v[62:63]
	v_add_f64 v[58:59], v[0:1], v[58:59]
	v_fma_f64 v[62:63], v[48:49], s[20:21], -v[62:63]
	;; [unrolled: 4-line block ×8, first 2 shown]
	v_add_f64 v[44:45], v[246:247], v[40:41]
	v_add_f64 v[40:41], v[246:247], -v[40:41]
	v_add_f64 v[56:57], v[2:3], v[56:57]
	v_add_f64 v[54:55], v[2:3], v[54:55]
	;; [unrolled: 1-line block ×17, first 2 shown]
	v_mul_f64 v[46:47], v[40:41], s[18:19]
	v_add_f64 v[38:39], v[248:249], -v[38:39]
	v_fma_f64 v[48:49], v[42:43], s[20:21], -v[46:47]
	v_add_f64 v[48:49], v[48:49], v[52:53]
	v_mul_f64 v[52:53], v[38:39], s[18:19]
	v_fmac_f64_e32 v[46:47], s[20:21], v[42:43]
	v_fma_f64 v[246:247], s[20:21], v[44:45], v[52:53]
	v_add_f64 v[46:47], v[46:47], v[50:51]
	v_fma_f64 v[50:51], v[44:45], s[20:21], -v[52:53]
	v_mul_f64 v[52:53], v[40:41], s[8:9]
	v_add_f64 v[50:51], v[50:51], v[54:55]
	v_fma_f64 v[54:55], v[42:43], s[10:11], -v[52:53]
	v_add_f64 v[54:55], v[54:55], v[60:61]
	v_mul_f64 v[60:61], v[38:39], s[8:9]
	v_fmac_f64_e32 v[52:53], s[10:11], v[42:43]
	v_add_f64 v[56:57], v[246:247], v[56:57]
	v_fma_f64 v[246:247], s[10:11], v[44:45], v[60:61]
	v_add_f64 v[52:53], v[52:53], v[58:59]
	v_fma_f64 v[58:59], v[44:45], s[10:11], -v[60:61]
	v_mul_f64 v[60:61], v[40:41], s[28:29]
	v_add_f64 v[58:59], v[58:59], v[62:63]
	v_fma_f64 v[62:63], v[42:43], s[30:31], -v[60:61]
	v_add_f64 v[62:63], v[62:63], v[68:69]
	v_mul_f64 v[68:69], v[38:39], s[28:29]
	v_fmac_f64_e32 v[60:61], s[30:31], v[42:43]
	v_add_f64 v[64:65], v[246:247], v[64:65]
	;; [unrolled: 10-line block ×3, first 2 shown]
	v_fma_f64 v[246:247], s[44:45], v[44:45], v[76:77]
	v_add_f64 v[68:69], v[68:69], v[74:75]
	v_fma_f64 v[74:75], v[44:45], s[44:45], -v[76:77]
	v_mul_f64 v[76:77], v[40:41], s[46:47]
	v_add_f64 v[74:75], v[74:75], v[78:79]
	v_fma_f64 v[78:79], v[42:43], s[36:37], -v[76:77]
	v_add_f64 v[78:79], v[78:79], v[84:85]
	v_mul_f64 v[84:85], v[38:39], s[46:47]
	v_add_f64 v[80:81], v[246:247], v[80:81]
	v_fma_f64 v[246:247], s[36:37], v[44:45], v[84:85]
	v_mul_f64 v[248:249], v[38:39], s[38:39]
	v_add_f64 v[246:247], v[246:247], v[250:251]
	v_fma_f64 v[250:251], s[22:23], v[44:45], v[248:249]
	v_fma_f64 v[248:249], v[44:45], s[22:23], -v[248:249]
	v_add_f64 v[156:157], v[248:249], v[156:157]
	v_mul_f64 v[248:249], v[40:41], s[42:43]
	v_add_f64 v[158:159], v[250:251], v[158:159]
	v_fma_f64 v[250:251], v[42:43], s[14:15], -v[248:249]
	v_fmac_f64_e32 v[76:77], s[36:37], v[42:43]
	v_add_f64 v[162:163], v[250:251], v[162:163]
	v_mul_f64 v[250:251], v[38:39], s[42:43]
	v_fmac_f64_e32 v[248:249], s[14:15], v[42:43]
	v_add_f64 v[76:77], v[76:77], v[82:83]
	v_fma_f64 v[82:83], v[44:45], s[36:37], -v[84:85]
	v_mul_f64 v[84:85], v[40:41], s[38:39]
	v_add_f64 v[160:161], v[248:249], v[160:161]
	v_fma_f64 v[248:249], v[44:45], s[14:15], -v[250:251]
	v_mul_f64 v[40:41], v[40:41], s[48:49]
	v_add_f64 v[82:83], v[82:83], v[86:87]
	v_fma_f64 v[86:87], v[42:43], s[22:23], -v[84:85]
	v_fmac_f64_e32 v[84:85], s[22:23], v[42:43]
	v_add_f64 v[180:181], v[248:249], v[180:181]
	v_fma_f64 v[248:249], v[42:43], s[26:27], -v[40:41]
	v_mul_f64 v[38:39], v[38:39], s[48:49]
	v_add_f64 v[84:85], v[84:85], v[252:253]
	v_fma_f64 v[252:253], s[14:15], v[44:45], v[250:251]
	v_add_f64 v[184:185], v[248:249], v[184:185]
	v_fma_f64 v[248:249], s[26:27], v[44:45], v[38:39]
	v_fmac_f64_e32 v[40:41], s[26:27], v[42:43]
	v_fma_f64 v[38:39], v[44:45], s[26:27], -v[38:39]
	v_add_f64 v[44:45], v[238:239], -v[244:245]
	v_add_f64 v[0:1], v[40:41], v[0:1]
	v_add_f64 v[2:3], v[38:39], v[2:3]
	;; [unrolled: 1-line block ×4, first 2 shown]
	v_mul_f64 v[238:239], v[44:45], s[12:13]
	v_add_f64 v[42:43], v[240:241], -v[242:243]
	v_fma_f64 v[240:241], v[38:39], s[14:15], -v[238:239]
	v_add_f64 v[48:49], v[240:241], v[48:49]
	v_mul_f64 v[240:241], v[42:43], s[12:13]
	v_fmac_f64_e32 v[238:239], s[14:15], v[38:39]
	v_add_f64 v[46:47], v[238:239], v[46:47]
	v_fma_f64 v[238:239], v[40:41], s[14:15], -v[240:241]
	v_add_f64 v[50:51], v[238:239], v[50:51]
	v_mul_f64 v[238:239], v[44:45], s[28:29]
	v_fma_f64 v[242:243], s[14:15], v[40:41], v[240:241]
	v_fma_f64 v[240:241], v[38:39], s[30:31], -v[238:239]
	v_add_f64 v[54:55], v[240:241], v[54:55]
	v_mul_f64 v[240:241], v[42:43], s[28:29]
	v_fmac_f64_e32 v[238:239], s[30:31], v[38:39]
	v_add_f64 v[52:53], v[238:239], v[52:53]
	v_fma_f64 v[238:239], v[40:41], s[30:31], -v[240:241]
	v_add_f64 v[58:59], v[238:239], v[58:59]
	v_mul_f64 v[238:239], v[44:45], s[52:53]
	v_add_f64 v[56:57], v[242:243], v[56:57]
	v_fma_f64 v[242:243], s[30:31], v[40:41], v[240:241]
	v_fma_f64 v[240:241], v[38:39], s[44:45], -v[238:239]
	v_add_f64 v[62:63], v[240:241], v[62:63]
	v_mul_f64 v[240:241], v[42:43], s[52:53]
	v_fmac_f64_e32 v[238:239], s[44:45], v[38:39]
	v_add_f64 v[60:61], v[238:239], v[60:61]
	v_fma_f64 v[238:239], v[40:41], s[44:45], -v[240:241]
	v_add_f64 v[66:67], v[238:239], v[66:67]
	v_mul_f64 v[238:239], v[44:45], s[38:39]
	v_add_f64 v[64:65], v[242:243], v[64:65]
	;; [unrolled: 10-line block ×4, first 2 shown]
	v_add_f64 v[80:81], v[242:243], v[80:81]
	v_fma_f64 v[242:243], s[20:21], v[40:41], v[240:241]
	v_fma_f64 v[240:241], v[38:39], s[26:27], -v[238:239]
	v_add_f64 v[86:87], v[240:241], v[86:87]
	v_mul_f64 v[240:241], v[42:43], s[24:25]
	v_fmac_f64_e32 v[238:239], s[26:27], v[38:39]
	v_add_f64 v[84:85], v[238:239], v[84:85]
	v_fma_f64 v[238:239], v[40:41], s[26:27], -v[240:241]
	v_add_f64 v[156:157], v[238:239], v[156:157]
	v_mul_f64 v[238:239], v[44:45], s[8:9]
	v_fma_f64 v[244:245], s[26:27], v[40:41], v[240:241]
	v_fma_f64 v[240:241], v[38:39], s[10:11], -v[238:239]
	v_add_f64 v[162:163], v[240:241], v[162:163]
	v_mul_f64 v[240:241], v[42:43], s[8:9]
	v_fmac_f64_e32 v[238:239], s[10:11], v[38:39]
	v_add_f64 v[160:161], v[238:239], v[160:161]
	v_fma_f64 v[238:239], v[40:41], s[10:11], -v[240:241]
	v_mul_f64 v[44:45], v[44:45], s[34:35]
	v_add_f64 v[180:181], v[238:239], v[180:181]
	v_fma_f64 v[238:239], v[38:39], s[36:37], -v[44:45]
	v_mul_f64 v[42:43], v[42:43], s[34:35]
	v_fmac_f64_e32 v[44:45], s[36:37], v[38:39]
	v_add_f64 v[0:1], v[44:45], v[0:1]
	v_fma_f64 v[38:39], v[40:41], s[36:37], -v[42:43]
	v_add_f64 v[44:45], v[230:231], -v[236:237]
	v_add_f64 v[158:159], v[244:245], v[158:159]
	v_fma_f64 v[244:245], s[10:11], v[40:41], v[240:241]
	v_add_f64 v[184:185], v[238:239], v[184:185]
	v_fma_f64 v[238:239], s[36:37], v[40:41], v[42:43]
	v_add_f64 v[2:3], v[38:39], v[2:3]
	v_add_f64 v[38:39], v[232:233], v[234:235]
	;; [unrolled: 1-line block ×3, first 2 shown]
	v_mul_f64 v[230:231], v[44:45], s[8:9]
	v_add_f64 v[42:43], v[232:233], -v[234:235]
	v_fma_f64 v[232:233], v[38:39], s[10:11], -v[230:231]
	v_add_f64 v[48:49], v[232:233], v[48:49]
	v_mul_f64 v[232:233], v[42:43], s[8:9]
	v_fmac_f64_e32 v[230:231], s[10:11], v[38:39]
	v_add_f64 v[46:47], v[230:231], v[46:47]
	v_fma_f64 v[230:231], v[40:41], s[10:11], -v[232:233]
	v_add_f64 v[50:51], v[230:231], v[50:51]
	v_mul_f64 v[230:231], v[44:45], s[40:41]
	v_fma_f64 v[234:235], s[10:11], v[40:41], v[232:233]
	v_fma_f64 v[232:233], v[38:39], s[44:45], -v[230:231]
	v_add_f64 v[54:55], v[232:233], v[54:55]
	v_mul_f64 v[232:233], v[42:43], s[40:41]
	v_fmac_f64_e32 v[230:231], s[44:45], v[38:39]
	v_add_f64 v[52:53], v[230:231], v[52:53]
	v_fma_f64 v[230:231], v[40:41], s[44:45], -v[232:233]
	v_add_f64 v[58:59], v[230:231], v[58:59]
	v_mul_f64 v[230:231], v[44:45], s[38:39]
	v_add_f64 v[56:57], v[234:235], v[56:57]
	v_fma_f64 v[234:235], s[44:45], v[40:41], v[232:233]
	v_fma_f64 v[232:233], v[38:39], s[22:23], -v[230:231]
	v_add_f64 v[62:63], v[232:233], v[62:63]
	v_mul_f64 v[232:233], v[42:43], s[38:39]
	v_fmac_f64_e32 v[230:231], s[22:23], v[38:39]
	v_add_f64 v[60:61], v[230:231], v[60:61]
	v_fma_f64 v[230:231], v[40:41], s[22:23], -v[232:233]
	v_add_f64 v[66:67], v[230:231], v[66:67]
	v_mul_f64 v[230:231], v[44:45], s[48:49]
	v_add_f64 v[64:65], v[234:235], v[64:65]
	;; [unrolled: 10-line block ×4, first 2 shown]
	v_fma_f64 v[234:235], s[14:15], v[40:41], v[232:233]
	v_fma_f64 v[232:233], v[38:39], s[36:37], -v[230:231]
	v_add_f64 v[86:87], v[232:233], v[86:87]
	v_mul_f64 v[232:233], v[42:43], s[34:35]
	v_fmac_f64_e32 v[230:231], s[36:37], v[38:39]
	v_add_f64 v[84:85], v[230:231], v[84:85]
	v_fma_f64 v[230:231], v[40:41], s[36:37], -v[232:233]
	v_add_f64 v[156:157], v[230:231], v[156:157]
	v_mul_f64 v[230:231], v[44:45], s[54:55]
	v_fma_f64 v[236:237], s[36:37], v[40:41], v[232:233]
	v_fma_f64 v[232:233], v[38:39], s[30:31], -v[230:231]
	v_add_f64 v[162:163], v[232:233], v[162:163]
	v_mul_f64 v[232:233], v[42:43], s[54:55]
	v_fmac_f64_e32 v[230:231], s[30:31], v[38:39]
	v_add_f64 v[160:161], v[230:231], v[160:161]
	v_fma_f64 v[230:231], v[40:41], s[30:31], -v[232:233]
	v_mul_f64 v[44:45], v[44:45], s[50:51]
	v_add_f64 v[180:181], v[230:231], v[180:181]
	v_fma_f64 v[230:231], v[38:39], s[20:21], -v[44:45]
	v_mul_f64 v[42:43], v[42:43], s[50:51]
	v_add_f64 v[158:159], v[236:237], v[158:159]
	v_fma_f64 v[236:237], s[30:31], v[40:41], v[232:233]
	v_add_f64 v[184:185], v[230:231], v[184:185]
	v_fma_f64 v[230:231], s[20:21], v[40:41], v[42:43]
	v_fmac_f64_e32 v[44:45], s[20:21], v[38:39]
	v_fma_f64 v[38:39], v[40:41], s[20:21], -v[42:43]
	v_add_f64 v[40:41], v[30:31], v[228:229]
	v_add_f64 v[30:31], v[30:31], -v[228:229]
	v_add_f64 v[0:1], v[44:45], v[0:1]
	v_add_f64 v[2:3], v[38:39], v[2:3]
	;; [unrolled: 1-line block ×3, first 2 shown]
	v_mul_f64 v[44:45], v[30:31], s[16:17]
	v_add_f64 v[42:43], v[224:225], -v[226:227]
	v_fma_f64 v[224:225], v[38:39], s[22:23], -v[44:45]
	v_add_f64 v[48:49], v[224:225], v[48:49]
	v_mul_f64 v[224:225], v[42:43], s[16:17]
	v_fmac_f64_e32 v[44:45], s[22:23], v[38:39]
	v_add_f64 v[44:45], v[44:45], v[46:47]
	v_fma_f64 v[46:47], v[40:41], s[22:23], -v[224:225]
	v_add_f64 v[46:47], v[46:47], v[50:51]
	v_mul_f64 v[50:51], v[30:31], s[46:47]
	v_fma_f64 v[226:227], s[22:23], v[40:41], v[224:225]
	v_fma_f64 v[224:225], v[38:39], s[36:37], -v[50:51]
	v_add_f64 v[54:55], v[224:225], v[54:55]
	v_mul_f64 v[224:225], v[42:43], s[46:47]
	v_fmac_f64_e32 v[50:51], s[36:37], v[38:39]
	v_add_f64 v[50:51], v[50:51], v[52:53]
	v_fma_f64 v[52:53], v[40:41], s[36:37], -v[224:225]
	v_add_f64 v[52:53], v[52:53], v[58:59]
	v_mul_f64 v[58:59], v[30:31], s[50:51]
	v_add_f64 v[56:57], v[226:227], v[56:57]
	v_fma_f64 v[226:227], s[36:37], v[40:41], v[224:225]
	v_fma_f64 v[224:225], v[38:39], s[20:21], -v[58:59]
	v_add_f64 v[62:63], v[224:225], v[62:63]
	v_mul_f64 v[224:225], v[42:43], s[50:51]
	v_fmac_f64_e32 v[58:59], s[20:21], v[38:39]
	v_add_f64 v[58:59], v[58:59], v[60:61]
	v_fma_f64 v[60:61], v[40:41], s[20:21], -v[224:225]
	v_add_f64 v[60:61], v[60:61], v[66:67]
	v_mul_f64 v[66:67], v[30:31], s[12:13]
	v_add_f64 v[64:65], v[226:227], v[64:65]
	v_fma_f64 v[226:227], s[20:21], v[40:41], v[224:225]
	v_fma_f64 v[224:225], v[38:39], s[14:15], -v[66:67]
	v_add_f64 v[70:71], v[224:225], v[70:71]
	v_mul_f64 v[224:225], v[42:43], s[12:13]
	v_fmac_f64_e32 v[66:67], s[14:15], v[38:39]
	v_add_f64 v[66:67], v[66:67], v[68:69]
	v_fma_f64 v[68:69], v[40:41], s[14:15], -v[224:225]
	v_add_f64 v[68:69], v[68:69], v[74:75]
	v_mul_f64 v[74:75], v[30:31], s[40:41]
	v_add_f64 v[72:73], v[226:227], v[72:73]
	v_fma_f64 v[226:227], s[14:15], v[40:41], v[224:225]
	v_fma_f64 v[224:225], v[38:39], s[44:45], -v[74:75]
	v_add_f64 v[78:79], v[224:225], v[78:79]
	v_mul_f64 v[224:225], v[42:43], s[40:41]
	v_fmac_f64_e32 v[74:75], s[44:45], v[38:39]
	v_add_f64 v[74:75], v[74:75], v[76:77]
	v_fma_f64 v[76:77], v[40:41], s[44:45], -v[224:225]
	v_add_f64 v[76:77], v[76:77], v[82:83]
	v_mul_f64 v[82:83], v[30:31], s[56:57]
	v_add_f64 v[80:81], v[226:227], v[80:81]
	v_fma_f64 v[226:227], s[44:45], v[40:41], v[224:225]
	v_fma_f64 v[224:225], v[38:39], s[10:11], -v[82:83]
	v_add_f64 v[86:87], v[224:225], v[86:87]
	v_mul_f64 v[224:225], v[42:43], s[56:57]
	v_fmac_f64_e32 v[82:83], s[10:11], v[38:39]
	v_add_f64 v[82:83], v[82:83], v[84:85]
	v_fma_f64 v[84:85], v[40:41], s[10:11], -v[224:225]
	v_add_f64 v[84:85], v[84:85], v[156:157]
	v_mul_f64 v[156:157], v[30:31], s[24:25]
	v_fma_f64 v[228:229], s[10:11], v[40:41], v[224:225]
	v_fma_f64 v[224:225], v[38:39], s[26:27], -v[156:157]
	v_add_f64 v[162:163], v[224:225], v[162:163]
	v_mul_f64 v[224:225], v[42:43], s[24:25]
	v_fmac_f64_e32 v[156:157], s[26:27], v[38:39]
	v_add_f64 v[156:157], v[156:157], v[160:161]
	v_fma_f64 v[160:161], v[40:41], s[26:27], -v[224:225]
	v_mul_f64 v[30:31], v[30:31], s[28:29]
	v_add_f64 v[160:161], v[160:161], v[180:181]
	v_fma_f64 v[180:181], v[38:39], s[30:31], -v[30:31]
	v_mul_f64 v[42:43], v[42:43], s[28:29]
	v_fmac_f64_e32 v[30:31], s[30:31], v[38:39]
	v_add_f64 v[0:1], v[30:31], v[0:1]
	v_fma_f64 v[30:31], v[40:41], s[30:31], -v[42:43]
	v_add_f64 v[38:39], v[22:23], v[24:25]
	v_add_f64 v[22:23], v[22:23], -v[24:25]
	v_add_f64 v[2:3], v[30:31], v[2:3]
	v_add_f64 v[30:31], v[26:27], v[28:29]
	v_add_f64 v[26:27], v[26:27], -v[28:29]
	v_mul_f64 v[24:25], v[22:23], s[28:29]
	v_add_f64 v[158:159], v[228:229], v[158:159]
	v_fma_f64 v[228:229], s[26:27], v[40:41], v[224:225]
	v_add_f64 v[180:181], v[180:181], v[184:185]
	v_fma_f64 v[184:185], s[30:31], v[40:41], v[42:43]
	v_fma_f64 v[28:29], v[30:31], s[30:31], -v[24:25]
	v_mul_f64 v[40:41], v[26:27], s[28:29]
	v_fmac_f64_e32 v[24:25], s[30:31], v[30:31]
	v_fma_f64 v[42:43], s[30:31], v[38:39], v[40:41]
	v_add_f64 v[24:25], v[24:25], v[44:45]
	v_fma_f64 v[40:41], v[38:39], s[30:31], -v[40:41]
	v_mul_f64 v[44:45], v[22:23], s[38:39]
	v_add_f64 v[28:29], v[28:29], v[48:49]
	v_add_f64 v[40:41], v[40:41], v[46:47]
	v_fma_f64 v[46:47], v[30:31], s[22:23], -v[44:45]
	v_mul_f64 v[48:49], v[26:27], s[38:39]
	v_fmac_f64_e32 v[44:45], s[22:23], v[30:31]
	v_add_f64 v[46:47], v[46:47], v[54:55]
	v_fma_f64 v[54:55], s[22:23], v[38:39], v[48:49]
	v_add_f64 v[44:45], v[44:45], v[50:51]
	v_fma_f64 v[48:49], v[38:39], s[22:23], -v[48:49]
	v_mul_f64 v[50:51], v[22:23], s[24:25]
	v_add_f64 v[42:43], v[42:43], v[56:57]
	v_add_f64 v[48:49], v[48:49], v[52:53]
	v_fma_f64 v[52:53], v[30:31], s[26:27], -v[50:51]
	v_mul_f64 v[56:57], v[26:27], s[24:25]
	v_fmac_f64_e32 v[50:51], s[26:27], v[30:31]
	v_add_f64 v[52:53], v[52:53], v[62:63]
	;; [unrolled: 10-line block ×5, first 2 shown]
	v_fma_f64 v[86:87], s[20:21], v[38:39], v[80:81]
	v_add_f64 v[74:75], v[74:75], v[82:83]
	v_fma_f64 v[80:81], v[38:39], s[20:21], -v[80:81]
	v_mul_f64 v[82:83], v[22:23], s[40:41]
	v_add_f64 v[86:87], v[86:87], v[158:159]
	v_add_f64 v[80:81], v[80:81], v[84:85]
	v_fma_f64 v[84:85], v[30:31], s[44:45], -v[82:83]
	v_mul_f64 v[158:159], v[26:27], s[40:41]
	v_fmac_f64_e32 v[82:83], s[44:45], v[30:31]
	v_mul_f64 v[22:23], v[22:23], s[42:43]
	v_add_f64 v[84:85], v[84:85], v[162:163]
	v_fma_f64 v[162:163], s[44:45], v[38:39], v[158:159]
	v_add_f64 v[82:83], v[82:83], v[156:157]
	v_fma_f64 v[156:157], v[38:39], s[44:45], -v[158:159]
	v_fma_f64 v[158:159], v[30:31], s[14:15], -v[22:23]
	v_mul_f64 v[26:27], v[26:27], s[42:43]
	v_fmac_f64_e32 v[22:23], s[14:15], v[30:31]
	v_add_f64 v[156:157], v[156:157], v[160:161]
	v_fma_f64 v[160:161], s[14:15], v[38:39], v[26:27]
	v_add_f64 v[0:1], v[22:23], v[0:1]
	v_fma_f64 v[22:23], v[38:39], s[14:15], -v[26:27]
	v_add_f64 v[26:27], v[12:13], v[14:15]
	v_add_f64 v[12:13], v[12:13], -v[14:15]
	v_add_f64 v[2:3], v[22:23], v[2:3]
	v_add_f64 v[22:23], v[18:19], v[20:21]
	v_mul_f64 v[14:15], v[12:13], s[34:35]
	v_add_f64 v[18:19], v[18:19], -v[20:21]
	v_fma_f64 v[20:21], v[22:23], s[36:37], -v[14:15]
	v_add_f64 v[20:21], v[20:21], v[28:29]
	v_mul_f64 v[28:29], v[18:19], s[34:35]
	v_fmac_f64_e32 v[14:15], s[36:37], v[22:23]
	v_fma_f64 v[30:31], s[36:37], v[26:27], v[28:29]
	v_add_f64 v[14:15], v[14:15], v[24:25]
	v_fma_f64 v[24:25], v[26:27], s[36:37], -v[28:29]
	v_mul_f64 v[28:29], v[12:13], s[42:43]
	v_add_f64 v[24:25], v[24:25], v[40:41]
	v_fma_f64 v[38:39], v[22:23], s[14:15], -v[28:29]
	v_mul_f64 v[40:41], v[18:19], s[42:43]
	v_fmac_f64_e32 v[28:29], s[14:15], v[22:23]
	v_add_f64 v[30:31], v[30:31], v[42:43]
	v_fma_f64 v[42:43], s[14:15], v[26:27], v[40:41]
	v_add_f64 v[28:29], v[28:29], v[44:45]
	v_fma_f64 v[40:41], v[26:27], s[14:15], -v[40:41]
	v_mul_f64 v[44:45], v[12:13], s[8:9]
	v_add_f64 v[38:39], v[38:39], v[46:47]
	v_add_f64 v[40:41], v[40:41], v[48:49]
	v_fma_f64 v[46:47], v[22:23], s[10:11], -v[44:45]
	v_mul_f64 v[48:49], v[18:19], s[8:9]
	v_fmac_f64_e32 v[44:45], s[10:11], v[22:23]
	v_add_f64 v[46:47], v[46:47], v[52:53]
	v_fma_f64 v[52:53], s[10:11], v[26:27], v[48:49]
	v_add_f64 v[44:45], v[44:45], v[50:51]
	v_fma_f64 v[48:49], v[26:27], s[10:11], -v[48:49]
	v_mul_f64 v[50:51], v[12:13], s[54:55]
	v_add_f64 v[42:43], v[42:43], v[54:55]
	;; [unrolled: 10-line block ×3, first 2 shown]
	v_add_f64 v[52:53], v[52:53], v[62:63]
	v_add_f64 v[56:57], v[56:57], v[64:65]
	v_fma_f64 v[62:63], v[22:23], s[26:27], -v[58:59]
	v_mul_f64 v[64:65], v[18:19], s[24:25]
	v_fmac_f64_e32 v[58:59], s[26:27], v[22:23]
	v_add_f64 v[182:183], v[252:253], v[182:183]
	v_add_f64 v[186:187], v[248:249], v[186:187]
	;; [unrolled: 1-line block ×4, first 2 shown]
	v_fma_f64 v[68:69], s[26:27], v[26:27], v[64:65]
	v_add_f64 v[58:59], v[58:59], v[66:67]
	v_fma_f64 v[64:65], v[26:27], s[26:27], -v[64:65]
	v_mul_f64 v[66:67], v[12:13], s[40:41]
	v_add_f64 v[182:183], v[244:245], v[182:183]
	v_add_f64 v[186:187], v[238:239], v[186:187]
	;; [unrolled: 1-line block ×5, first 2 shown]
	v_fma_f64 v[70:71], v[22:23], s[44:45], -v[66:67]
	v_mul_f64 v[72:73], v[18:19], s[40:41]
	v_fmac_f64_e32 v[66:67], s[44:45], v[22:23]
	v_add_f64 v[182:183], v[236:237], v[182:183]
	v_add_f64 v[186:187], v[230:231], v[186:187]
	;; [unrolled: 1-line block ×4, first 2 shown]
	v_fma_f64 v[76:77], s[44:45], v[26:27], v[72:73]
	v_add_f64 v[66:67], v[66:67], v[74:75]
	v_fma_f64 v[72:73], v[26:27], s[44:45], -v[72:73]
	v_mul_f64 v[74:75], v[12:13], s[50:51]
	v_add_f64 v[182:183], v[228:229], v[182:183]
	v_add_f64 v[184:185], v[184:185], v[186:187]
	;; [unrolled: 1-line block ×4, first 2 shown]
	v_fma_f64 v[78:79], v[22:23], s[20:21], -v[74:75]
	v_mul_f64 v[80:81], v[18:19], s[50:51]
	v_fmac_f64_e32 v[74:75], s[20:21], v[22:23]
	v_mul_f64 v[12:13], v[12:13], s[16:17]
	v_mul_f64 v[18:19], v[18:19], s[16:17]
	v_add_f64 v[162:163], v[162:163], v[182:183]
	v_add_f64 v[160:161], v[160:161], v[184:185]
	;; [unrolled: 1-line block ×4, first 2 shown]
	v_fma_f64 v[84:85], s[20:21], v[26:27], v[80:81]
	v_add_f64 v[74:75], v[74:75], v[82:83]
	v_fma_f64 v[80:81], v[26:27], s[20:21], -v[80:81]
	v_fma_f64 v[82:83], v[22:23], s[22:23], -v[12:13]
	v_fma_f64 v[86:87], s[22:23], v[26:27], v[18:19]
	v_fmac_f64_e32 v[12:13], s[22:23], v[22:23]
	v_add_f64 v[182:183], v[4:5], -v[6:7]
	v_add_f64 v[158:159], v[158:159], v[180:181]
	v_add_f64 v[84:85], v[84:85], v[162:163]
	;; [unrolled: 1-line block ×5, first 2 shown]
	v_fma_f64 v[0:1], v[26:27], s[22:23], -v[18:19]
	v_add_f64 v[160:161], v[8:9], v[10:11]
	v_add_f64 v[162:163], v[4:5], v[6:7]
	v_add_f64 v[180:181], v[8:9], -v[10:11]
	v_mul_f64 v[4:5], v[182:183], s[40:41]
	v_add_f64 v[82:83], v[82:83], v[158:159]
	v_add_f64 v[158:159], v[0:1], v[2:3]
	v_fma_f64 v[0:1], v[160:161], s[44:45], -v[4:5]
	v_mul_f64 v[6:7], v[180:181], s[40:41]
	v_fmac_f64_e32 v[4:5], s[44:45], v[160:161]
	v_fma_f64 v[2:3], s[44:45], v[162:163], v[6:7]
	v_add_f64 v[4:5], v[4:5], v[14:15]
	v_mul_f64 v[14:15], v[180:181], s[48:49]
	v_add_f64 v[2:3], v[2:3], v[30:31]
	v_mul_f64 v[12:13], v[182:183], s[48:49]
	v_fma_f64 v[10:11], s[26:27], v[162:163], v[14:15]
	v_fma_f64 v[14:15], v[162:163], s[26:27], -v[14:15]
	v_mul_f64 v[30:31], v[182:183], s[50:51]
	v_fma_f64 v[6:7], v[162:163], s[44:45], -v[6:7]
	v_fma_f64 v[8:9], v[160:161], s[26:27], -v[12:13]
	v_add_f64 v[14:15], v[14:15], v[40:41]
	v_fma_f64 v[26:27], v[160:161], s[20:21], -v[30:31]
	v_mul_f64 v[40:41], v[180:181], s[50:51]
	v_fmac_f64_e32 v[30:31], s[20:21], v[160:161]
	v_add_f64 v[6:7], v[6:7], v[24:25]
	v_add_f64 v[8:9], v[8:9], v[38:39]
	v_fmac_f64_e32 v[12:13], s[26:27], v[160:161]
	v_mul_f64 v[24:25], v[180:181], s[34:35]
	v_add_f64 v[38:39], v[30:31], v[50:51]
	v_fma_f64 v[30:31], v[162:163], s[20:21], -v[40:41]
	v_add_f64 v[0:1], v[0:1], v[20:21]
	v_add_f64 v[12:13], v[12:13], v[28:29]
	v_mul_f64 v[22:23], v[182:183], s[34:35]
	v_fma_f64 v[20:21], s[36:37], v[162:163], v[24:25]
	v_fma_f64 v[24:25], v[162:163], s[36:37], -v[24:25]
	v_fma_f64 v[28:29], s[20:21], v[162:163], v[40:41]
	v_add_f64 v[40:41], v[30:31], v[56:57]
	v_mul_f64 v[30:31], v[182:183], s[28:29]
	v_add_f64 v[10:11], v[10:11], v[42:43]
	v_fma_f64 v[18:19], v[160:161], s[36:37], -v[22:23]
	v_add_f64 v[24:25], v[24:25], v[48:49]
	v_fma_f64 v[42:43], v[160:161], s[30:31], -v[30:31]
	v_mul_f64 v[48:49], v[180:181], s[28:29]
	v_fmac_f64_e32 v[30:31], s[30:31], v[160:161]
	v_add_f64 v[18:19], v[18:19], v[46:47]
	v_fmac_f64_e32 v[22:23], s[36:37], v[160:161]
	v_add_f64 v[46:47], v[30:31], v[58:59]
	v_fma_f64 v[30:31], v[162:163], s[30:31], -v[48:49]
	v_add_f64 v[22:23], v[22:23], v[44:45]
	v_fma_f64 v[44:45], s[30:31], v[162:163], v[48:49]
	v_add_f64 v[48:49], v[30:31], v[64:65]
	v_mul_f64 v[30:31], v[182:183], s[42:43]
	v_fma_f64 v[50:51], v[160:161], s[14:15], -v[30:31]
	v_mul_f64 v[56:57], v[180:181], s[42:43]
	v_fmac_f64_e32 v[30:31], s[14:15], v[160:161]
	v_add_f64 v[26:27], v[26:27], v[54:55]
	v_add_f64 v[54:55], v[30:31], v[66:67]
	v_fma_f64 v[30:31], v[162:163], s[14:15], -v[56:57]
	v_add_f64 v[20:21], v[20:21], v[52:53]
	v_fma_f64 v[52:53], s[14:15], v[162:163], v[56:57]
	v_add_f64 v[56:57], v[30:31], v[72:73]
	v_mul_f64 v[30:31], v[182:183], s[16:17]
	v_fma_f64 v[58:59], v[160:161], s[22:23], -v[30:31]
	v_mul_f64 v[64:65], v[180:181], s[16:17]
	v_fmac_f64_e32 v[30:31], s[22:23], v[160:161]
	v_add_f64 v[42:43], v[42:43], v[62:63]
	v_add_f64 v[62:63], v[30:31], v[74:75]
	v_fma_f64 v[30:31], v[162:163], s[22:23], -v[64:65]
	v_add_f64 v[28:29], v[28:29], v[60:61]
	v_fma_f64 v[60:61], s[22:23], v[162:163], v[64:65]
	v_add_f64 v[64:65], v[30:31], v[80:81]
	v_mul_f64 v[30:31], v[182:183], s[56:57]
	v_add_f64 v[50:51], v[50:51], v[70:71]
	v_fma_f64 v[66:67], v[160:161], s[10:11], -v[30:31]
	v_mul_f64 v[70:71], v[180:181], s[56:57]
	v_fmac_f64_e32 v[30:31], s[10:11], v[160:161]
	v_add_f64 v[44:45], v[44:45], v[68:69]
	v_fma_f64 v[68:69], s[10:11], v[162:163], v[70:71]
	v_add_f64 v[224:225], v[30:31], v[156:157]
	v_fma_f64 v[30:31], v[162:163], s[10:11], -v[70:71]
	v_add_f64 v[52:53], v[52:53], v[76:77]
	v_add_f64 v[58:59], v[58:59], v[78:79]
	;; [unrolled: 1-line block ×6, first 2 shown]
	ds_write_b128 v32, v[220:223]
	ds_write_b128 v32, v[0:3] offset:1904
	ds_write_b128 v32, v[8:11] offset:3808
	;; [unrolled: 1-line block ×16, first 2 shown]
	v_add_co_u32_e64 v0, s[0:1], s0, v16
	s_waitcnt lgkmcnt(0)
	s_nop 0
	v_addc_co_u32_e64 v1, s[0:1], 0, v17, s[0:1]
	s_barrier
	global_load_dwordx4 v[240:243], v[0:1], off offset:3696
	s_mov_b64 s[0:1], 0x7e70
	v_lshl_add_u64 v[0:1], v[16:17], 0, s[0:1]
	global_load_dwordx4 v[232:235], v[0:1], off offset:1904
	global_load_dwordx4 v[228:231], v[0:1], off offset:3808
	s_mov_b32 s0, 0x9000
	v_add_co_u32_e64 v0, s[0:1], s0, v16
	s_nop 1
	v_addc_co_u32_e64 v1, s[0:1], 0, v17, s[0:1]
	global_load_dwordx4 v[220:223], v[0:1], off offset:1216
	global_load_dwordx4 v[224:227], v[0:1], off offset:3120
	s_mov_b32 s0, 0xa000
	v_add_co_u32_e64 v4, s[0:1], s0, v16
	s_nop 1
	v_addc_co_u32_e64 v5, s[0:1], 0, v17, s[0:1]
	;; [unrolled: 6-line block ×3, first 2 shown]
	global_load_dwordx4 v[244:247], v[4:5], off offset:640
	s_nop 0
	global_load_dwordx4 v[4:7], v[4:5], off offset:2544
	s_mov_b32 s0, 0xc000
	v_add_co_u32_e64 v12, s[0:1], s0, v16
	s_nop 1
	v_addc_co_u32_e64 v13, s[0:1], 0, v17, s[0:1]
	global_load_dwordx4 v[8:11], v[12:13], off offset:352
	ds_read_b128 v[18:21], v32
	ds_read_b128 v[22:25], v32 offset:1904
	s_mov_b32 s0, 0xd000
	global_load_dwordx4 v[12:15], v[12:13], off offset:2256
	v_add_co_u32_e64 v42, s[0:1], s0, v16
	s_waitcnt vmcnt(10) lgkmcnt(1)
	v_mul_f64 v[30:31], v[20:21], v[242:243]
	v_addc_co_u32_e64 v43, s[0:1], 0, v17, s[0:1]
	global_load_dwordx4 v[26:29], v[42:43], off offset:64
	v_mul_f64 v[40:41], v[18:19], v[242:243]
	v_fma_f64 v[38:39], v[18:19], v[240:241], -v[30:31]
	v_fmac_f64_e32 v[40:41], v[20:21], v[240:241]
	ds_write_b128 v32, v[38:41]
	global_load_dwordx4 v[38:41], v[42:43], off offset:1968
	s_waitcnt vmcnt(11) lgkmcnt(1)
	v_mul_f64 v[18:19], v[24:25], v[234:235]
	v_mul_f64 v[20:21], v[22:23], v[234:235]
	v_fma_f64 v[18:19], v[22:23], v[232:233], -v[18:19]
	v_fmac_f64_e32 v[20:21], v[24:25], v[232:233]
	s_mov_b32 s0, 0xe000
	ds_write_b128 v32, v[18:21] offset:1904
	global_load_dwordx4 v[18:21], v[42:43], off offset:3872
	v_add_co_u32_e64 v30, s[0:1], s0, v16
	ds_read_b128 v[22:25], v32 offset:3808
	ds_read_b128 v[42:45], v32 offset:5712
	v_addc_co_u32_e64 v31, s[0:1], 0, v17, s[0:1]
	global_load_dwordx4 v[46:49], v[30:31], off offset:1680
	s_mov_b32 s0, 0xf000
	s_waitcnt vmcnt(12) lgkmcnt(1)
	v_mul_f64 v[50:51], v[24:25], v[230:231]
	v_mul_f64 v[52:53], v[22:23], v[230:231]
	v_add_co_u32_e64 v16, s[0:1], s0, v16
	v_fma_f64 v[50:51], v[22:23], v[228:229], -v[50:51]
	v_fmac_f64_e32 v[52:53], v[24:25], v[228:229]
	global_load_dwordx4 v[22:25], v[30:31], off offset:3584
	v_addc_co_u32_e64 v17, s[0:1], 0, v17, s[0:1]
	global_load_dwordx4 v[54:57], v[16:17], off offset:1392
	ds_read_b128 v[58:61], v32 offset:7616
	ds_write_b128 v32, v[50:53] offset:3808
	s_waitcnt vmcnt(13) lgkmcnt(2)
	v_mul_f64 v[16:17], v[44:45], v[222:223]
	v_mul_f64 v[52:53], v[42:43], v[222:223]
	v_fma_f64 v[50:51], v[42:43], v[220:221], -v[16:17]
	v_fmac_f64_e32 v[52:53], v[44:45], v[220:221]
	ds_read_b128 v[42:45], v32 offset:9520
	ds_write_b128 v32, v[50:53] offset:5712
	s_waitcnt vmcnt(12) lgkmcnt(3)
	v_mul_f64 v[16:17], v[60:61], v[226:227]
	v_mul_f64 v[52:53], v[58:59], v[226:227]
	v_fma_f64 v[50:51], v[58:59], v[224:225], -v[16:17]
	v_fmac_f64_e32 v[52:53], v[60:61], v[224:225]
	;; [unrolled: 7-line block ×3, first 2 shown]
	ds_read_b128 v[0:3], v32 offset:13328
	ds_write_b128 v32, v[50:53] offset:9520
	s_waitcnt vmcnt(10) lgkmcnt(3)
	v_mul_f64 v[16:17], v[60:61], v[238:239]
	v_mul_f64 v[44:45], v[58:59], v[238:239]
	ds_read_b128 v[50:53], v32 offset:15232
	v_fma_f64 v[42:43], v[58:59], v[236:237], -v[16:17]
	v_fmac_f64_e32 v[44:45], v[60:61], v[236:237]
	ds_write_b128 v32, v[42:45] offset:11424
	s_waitcnt vmcnt(9) lgkmcnt(3)
	v_mul_f64 v[16:17], v[2:3], v[246:247]
	v_mul_f64 v[44:45], v[0:1], v[246:247]
	v_fma_f64 v[42:43], v[0:1], v[244:245], -v[16:17]
	v_fmac_f64_e32 v[44:45], v[2:3], v[244:245]
	ds_read_b128 v[0:3], v32 offset:17136
	ds_write_b128 v32, v[42:45] offset:13328
	s_waitcnt vmcnt(8) lgkmcnt(3)
	v_mul_f64 v[16:17], v[52:53], v[6:7]
	v_mul_f64 v[44:45], v[50:51], v[6:7]
	v_fma_f64 v[42:43], v[50:51], v[4:5], -v[16:17]
	v_fmac_f64_e32 v[44:45], v[52:53], v[4:5]
	ds_write_b128 v32, v[42:45] offset:15232
	ds_read_b128 v[42:45], v32 offset:19040
	s_waitcnt vmcnt(7) lgkmcnt(3)
	v_mul_f64 v[4:5], v[2:3], v[10:11]
	v_mul_f64 v[6:7], v[0:1], v[10:11]
	v_fma_f64 v[4:5], v[0:1], v[8:9], -v[4:5]
	v_fmac_f64_e32 v[6:7], v[2:3], v[8:9]
	ds_read_b128 v[0:3], v32 offset:20944
	ds_read_b128 v[8:11], v32 offset:22848
	ds_write_b128 v32, v[4:7] offset:17136
	s_waitcnt vmcnt(6) lgkmcnt(3)
	v_mul_f64 v[4:5], v[44:45], v[14:15]
	v_mul_f64 v[6:7], v[42:43], v[14:15]
	v_fma_f64 v[4:5], v[42:43], v[12:13], -v[4:5]
	v_fmac_f64_e32 v[6:7], v[44:45], v[12:13]
	ds_write_b128 v32, v[4:7] offset:19040
	s_waitcnt vmcnt(5) lgkmcnt(3)
	v_mul_f64 v[4:5], v[2:3], v[28:29]
	v_mul_f64 v[6:7], v[0:1], v[28:29]
	v_fma_f64 v[4:5], v[0:1], v[26:27], -v[4:5]
	v_fmac_f64_e32 v[6:7], v[2:3], v[26:27]
	ds_read_b128 v[0:3], v32 offset:24752
	ds_write_b128 v32, v[4:7] offset:20944
	s_waitcnt vmcnt(4) lgkmcnt(4)
	v_mul_f64 v[4:5], v[10:11], v[40:41]
	v_mul_f64 v[6:7], v[8:9], v[40:41]
	v_fma_f64 v[4:5], v[8:9], v[38:39], -v[4:5]
	v_fmac_f64_e32 v[6:7], v[10:11], v[38:39]
	ds_read_b128 v[8:11], v32 offset:26656
	;; [unrolled: 7-line block ×3, first 2 shown]
	ds_write_b128 v32, v[4:7] offset:24752
	s_waitcnt vmcnt(2) lgkmcnt(3)
	v_mul_f64 v[4:5], v[10:11], v[48:49]
	v_mul_f64 v[6:7], v[8:9], v[48:49]
	v_fma_f64 v[4:5], v[8:9], v[46:47], -v[4:5]
	v_fmac_f64_e32 v[6:7], v[10:11], v[46:47]
	ds_write_b128 v32, v[4:7] offset:26656
	ds_read_b128 v[4:7], v32 offset:30464
	s_waitcnt vmcnt(1) lgkmcnt(3)
	v_mul_f64 v[8:9], v[2:3], v[24:25]
	v_mul_f64 v[10:11], v[0:1], v[24:25]
	v_fma_f64 v[8:9], v[0:1], v[22:23], -v[8:9]
	v_fmac_f64_e32 v[10:11], v[2:3], v[22:23]
	s_waitcnt vmcnt(0) lgkmcnt(0)
	v_mul_f64 v[0:1], v[6:7], v[56:57]
	v_mul_f64 v[2:3], v[4:5], v[56:57]
	v_fma_f64 v[0:1], v[4:5], v[54:55], -v[0:1]
	v_fmac_f64_e32 v[2:3], v[6:7], v[54:55]
	ds_write_b128 v32, v[8:11] offset:28560
	ds_write_b128 v32, v[0:3] offset:30464
	s_waitcnt lgkmcnt(0)
	s_barrier
	ds_read_b128 v[12:15], v32
	ds_read_b128 v[20:23], v32 offset:1904
	ds_read_b128 v[16:19], v32 offset:3808
	;; [unrolled: 1-line block ×16, first 2 shown]
	s_waitcnt lgkmcnt(14)
	v_add_f64 v[44:45], v[14:15], v[22:23]
	v_add_f64 v[42:43], v[12:13], v[20:21]
	;; [unrolled: 1-line block ×4, first 2 shown]
	s_waitcnt lgkmcnt(13)
	v_add_f64 v[44:45], v[44:45], v[10:11]
	v_add_f64 v[42:43], v[42:43], v[8:9]
	s_waitcnt lgkmcnt(12)
	v_add_f64 v[44:45], v[44:45], v[2:3]
	v_add_f64 v[42:43], v[42:43], v[0:1]
	;; [unrolled: 3-line block ×14, first 2 shown]
	v_add_f64 v[22:23], v[22:23], -v[40:41]
	v_add_f64 v[232:233], v[42:43], v[38:39]
	v_add_f64 v[42:43], v[20:21], v[38:39]
	v_add_f64 v[20:21], v[20:21], -v[38:39]
	v_mul_f64 v[38:39], v[22:23], s[24:25]
	v_mul_f64 v[50:51], v[22:23], s[18:19]
	;; [unrolled: 1-line block ×8, first 2 shown]
	v_fma_f64 v[40:41], s[26:27], v[42:43], v[38:39]
	v_fma_f64 v[38:39], v[42:43], s[26:27], -v[38:39]
	v_fma_f64 v[52:53], s[20:21], v[42:43], v[50:51]
	v_fma_f64 v[50:51], v[42:43], s[20:21], -v[50:51]
	;; [unrolled: 2-line block ×8, first 2 shown]
	v_add_f64 v[40:41], v[12:13], v[40:41]
	v_mul_f64 v[46:47], v[44:45], s[26:27]
	v_add_f64 v[38:39], v[12:13], v[38:39]
	v_add_f64 v[52:53], v[12:13], v[52:53]
	v_mul_f64 v[54:55], v[44:45], s[20:21]
	v_add_f64 v[50:51], v[12:13], v[50:51]
	;; [unrolled: 3-line block ×8, first 2 shown]
	v_add_f64 v[22:23], v[18:19], v[30:31]
	v_add_f64 v[18:19], v[18:19], -v[30:31]
	v_fma_f64 v[48:49], s[48:49], v[20:21], v[46:47]
	v_fmac_f64_e32 v[46:47], s[24:25], v[20:21]
	v_fma_f64 v[56:57], s[50:51], v[20:21], v[54:55]
	v_fmac_f64_e32 v[54:55], s[18:19], v[20:21]
	;; [unrolled: 2-line block ×8, first 2 shown]
	v_add_f64 v[20:21], v[16:17], v[28:29]
	v_add_f64 v[16:17], v[16:17], -v[28:29]
	v_mul_f64 v[28:29], v[18:19], s[18:19]
	v_fma_f64 v[30:31], s[20:21], v[20:21], v[28:29]
	v_add_f64 v[30:31], v[30:31], v[40:41]
	v_mul_f64 v[40:41], v[22:23], s[20:21]
	v_add_f64 v[46:47], v[14:15], v[46:47]
	v_fma_f64 v[42:43], s[50:51], v[16:17], v[40:41]
	v_fma_f64 v[28:29], v[20:21], s[20:21], -v[28:29]
	v_fmac_f64_e32 v[40:41], s[18:19], v[16:17]
	v_add_f64 v[28:29], v[28:29], v[38:39]
	v_add_f64 v[38:39], v[40:41], v[46:47]
	v_mul_f64 v[40:41], v[18:19], s[8:9]
	v_add_f64 v[48:49], v[14:15], v[48:49]
	v_add_f64 v[56:57], v[14:15], v[56:57]
	;; [unrolled: 1-line block ×15, first 2 shown]
	v_fma_f64 v[44:45], s[10:11], v[20:21], v[40:41]
	v_fma_f64 v[40:41], v[20:21], s[10:11], -v[40:41]
	v_add_f64 v[40:41], v[40:41], v[50:51]
	v_mul_f64 v[50:51], v[18:19], s[28:29]
	v_add_f64 v[44:45], v[44:45], v[52:53]
	v_mul_f64 v[46:47], v[22:23], s[10:11]
	v_fma_f64 v[52:53], s[30:31], v[20:21], v[50:51]
	v_fma_f64 v[50:51], v[20:21], s[30:31], -v[50:51]
	v_add_f64 v[42:43], v[42:43], v[48:49]
	v_fma_f64 v[48:49], s[56:57], v[16:17], v[46:47]
	v_fmac_f64_e32 v[46:47], s[8:9], v[16:17]
	v_add_f64 v[50:51], v[50:51], v[58:59]
	v_mul_f64 v[58:59], v[18:19], s[40:41]
	v_add_f64 v[46:47], v[46:47], v[54:55]
	v_add_f64 v[52:53], v[52:53], v[60:61]
	v_mul_f64 v[54:55], v[22:23], s[30:31]
	v_fma_f64 v[60:61], s[44:45], v[20:21], v[58:59]
	v_fma_f64 v[58:59], v[20:21], s[44:45], -v[58:59]
	v_add_f64 v[48:49], v[48:49], v[56:57]
	v_fma_f64 v[56:57], s[54:55], v[16:17], v[54:55]
	v_fmac_f64_e32 v[54:55], s[28:29], v[16:17]
	v_add_f64 v[58:59], v[58:59], v[66:67]
	v_mul_f64 v[66:67], v[18:19], s[46:47]
	v_add_f64 v[54:55], v[54:55], v[62:63]
	;; [unrolled: 10-line block ×4, first 2 shown]
	v_add_f64 v[76:77], v[76:77], v[84:85]
	v_mul_f64 v[78:79], v[22:23], s[22:23]
	v_fma_f64 v[84:85], s[14:15], v[20:21], v[82:83]
	v_fma_f64 v[82:83], v[20:21], s[14:15], -v[82:83]
	v_mul_f64 v[18:19], v[18:19], s[48:49]
	v_add_f64 v[72:73], v[72:73], v[80:81]
	v_fma_f64 v[80:81], s[16:17], v[16:17], v[78:79]
	v_fmac_f64_e32 v[78:79], s[38:39], v[16:17]
	v_add_f64 v[82:83], v[82:83], v[158:159]
	v_fma_f64 v[158:159], s[26:27], v[20:21], v[18:19]
	v_fma_f64 v[18:19], v[20:21], s[26:27], -v[18:19]
	v_add_f64 v[78:79], v[78:79], v[86:87]
	v_mul_f64 v[86:87], v[22:23], s[14:15]
	v_mul_f64 v[22:23], v[22:23], s[26:27]
	v_add_f64 v[12:13], v[18:19], v[12:13]
	v_add_f64 v[18:19], v[10:11], v[26:27]
	v_add_f64 v[10:11], v[10:11], -v[26:27]
	v_add_f64 v[80:81], v[80:81], v[156:157]
	v_add_f64 v[84:85], v[84:85], v[160:161]
	v_fma_f64 v[156:157], s[12:13], v[16:17], v[86:87]
	v_fmac_f64_e32 v[86:87], s[42:43], v[16:17]
	v_fma_f64 v[160:161], s[24:25], v[16:17], v[22:23]
	v_fmac_f64_e32 v[22:23], s[48:49], v[16:17]
	v_add_f64 v[16:17], v[8:9], v[24:25]
	v_mul_f64 v[20:21], v[10:11], s[12:13]
	v_add_f64 v[14:15], v[22:23], v[14:15]
	v_add_f64 v[8:9], v[8:9], -v[24:25]
	v_fma_f64 v[22:23], s[14:15], v[16:17], v[20:21]
	v_mul_f64 v[24:25], v[18:19], s[14:15]
	v_fma_f64 v[20:21], v[16:17], s[14:15], -v[20:21]
	v_fma_f64 v[26:27], s[42:43], v[8:9], v[24:25]
	v_add_f64 v[20:21], v[20:21], v[28:29]
	v_fmac_f64_e32 v[24:25], s[12:13], v[8:9]
	v_mul_f64 v[28:29], v[10:11], s[28:29]
	v_add_f64 v[22:23], v[22:23], v[30:31]
	v_add_f64 v[24:25], v[24:25], v[38:39]
	v_fma_f64 v[30:31], s[30:31], v[16:17], v[28:29]
	v_mul_f64 v[38:39], v[18:19], s[30:31]
	v_fma_f64 v[28:29], v[16:17], s[30:31], -v[28:29]
	v_add_f64 v[26:27], v[26:27], v[42:43]
	v_fma_f64 v[42:43], s[54:55], v[8:9], v[38:39]
	v_add_f64 v[28:29], v[28:29], v[40:41]
	v_fmac_f64_e32 v[38:39], s[28:29], v[8:9]
	v_mul_f64 v[40:41], v[10:11], s[52:53]
	v_add_f64 v[30:31], v[30:31], v[44:45]
	v_add_f64 v[38:39], v[38:39], v[46:47]
	v_fma_f64 v[44:45], s[44:45], v[16:17], v[40:41]
	v_mul_f64 v[46:47], v[18:19], s[44:45]
	v_fma_f64 v[40:41], v[16:17], s[44:45], -v[40:41]
	v_add_f64 v[42:43], v[42:43], v[48:49]
	v_fma_f64 v[48:49], s[40:41], v[8:9], v[46:47]
	v_add_f64 v[40:41], v[40:41], v[50:51]
	v_fmac_f64_e32 v[46:47], s[52:53], v[8:9]
	v_mul_f64 v[50:51], v[10:11], s[38:39]
	v_add_f64 v[44:45], v[44:45], v[52:53]
	v_add_f64 v[46:47], v[46:47], v[54:55]
	v_fma_f64 v[52:53], s[22:23], v[16:17], v[50:51]
	v_mul_f64 v[54:55], v[18:19], s[22:23]
	v_fma_f64 v[50:51], v[16:17], s[22:23], -v[50:51]
	v_add_f64 v[48:49], v[48:49], v[56:57]
	v_fma_f64 v[56:57], s[16:17], v[8:9], v[54:55]
	v_add_f64 v[50:51], v[50:51], v[58:59]
	v_fmac_f64_e32 v[54:55], s[38:39], v[8:9]
	v_mul_f64 v[58:59], v[10:11], s[50:51]
	v_add_f64 v[52:53], v[52:53], v[60:61]
	v_add_f64 v[54:55], v[54:55], v[62:63]
	v_fma_f64 v[60:61], s[20:21], v[16:17], v[58:59]
	v_mul_f64 v[62:63], v[18:19], s[20:21]
	v_fma_f64 v[58:59], v[16:17], s[20:21], -v[58:59]
	v_add_f64 v[56:57], v[56:57], v[64:65]
	v_fma_f64 v[64:65], s[18:19], v[8:9], v[62:63]
	v_add_f64 v[58:59], v[58:59], v[66:67]
	v_fmac_f64_e32 v[62:63], s[50:51], v[8:9]
	v_mul_f64 v[66:67], v[10:11], s[24:25]
	v_add_f64 v[60:61], v[60:61], v[68:69]
	v_add_f64 v[62:63], v[62:63], v[70:71]
	v_fma_f64 v[68:69], s[26:27], v[16:17], v[66:67]
	v_mul_f64 v[70:71], v[18:19], s[26:27]
	v_fma_f64 v[66:67], v[16:17], s[26:27], -v[66:67]
	v_add_f64 v[64:65], v[64:65], v[72:73]
	v_fma_f64 v[72:73], s[48:49], v[8:9], v[70:71]
	v_add_f64 v[66:67], v[66:67], v[74:75]
	v_fmac_f64_e32 v[70:71], s[24:25], v[8:9]
	v_mul_f64 v[74:75], v[10:11], s[8:9]
	v_add_f64 v[68:69], v[68:69], v[76:77]
	v_add_f64 v[70:71], v[70:71], v[78:79]
	v_fma_f64 v[76:77], s[10:11], v[16:17], v[74:75]
	v_mul_f64 v[78:79], v[18:19], s[10:11]
	v_mul_f64 v[18:19], v[18:19], s[36:37]
	v_add_f64 v[76:77], v[76:77], v[84:85]
	v_fma_f64 v[74:75], v[16:17], s[10:11], -v[74:75]
	v_mul_f64 v[10:11], v[10:11], s[34:35]
	v_fma_f64 v[84:85], s[46:47], v[8:9], v[18:19]
	v_fmac_f64_e32 v[18:19], s[34:35], v[8:9]
	v_add_f64 v[72:73], v[72:73], v[80:81]
	v_fma_f64 v[80:81], s[56:57], v[8:9], v[78:79]
	v_add_f64 v[74:75], v[74:75], v[82:83]
	v_fmac_f64_e32 v[78:79], s[8:9], v[8:9]
	v_fma_f64 v[82:83], s[36:37], v[16:17], v[10:11]
	v_fma_f64 v[10:11], v[16:17], s[36:37], -v[10:11]
	v_add_f64 v[8:9], v[18:19], v[14:15]
	v_add_f64 v[14:15], v[2:3], v[6:7]
	v_add_f64 v[2:3], v[2:3], -v[6:7]
	v_add_f64 v[10:11], v[10:11], v[12:13]
	v_add_f64 v[12:13], v[0:1], v[4:5]
	v_add_f64 v[0:1], v[0:1], -v[4:5]
	v_mul_f64 v[4:5], v[2:3], s[8:9]
	v_fma_f64 v[6:7], s[10:11], v[12:13], v[4:5]
	v_mul_f64 v[16:17], v[14:15], s[10:11]
	v_fma_f64 v[4:5], v[12:13], s[10:11], -v[4:5]
	v_fma_f64 v[18:19], s[56:57], v[0:1], v[16:17]
	v_add_f64 v[4:5], v[4:5], v[20:21]
	v_fmac_f64_e32 v[16:17], s[8:9], v[0:1]
	v_mul_f64 v[20:21], v[2:3], s[40:41]
	v_add_f64 v[6:7], v[6:7], v[22:23]
	v_add_f64 v[16:17], v[16:17], v[24:25]
	v_fma_f64 v[22:23], s[44:45], v[12:13], v[20:21]
	v_mul_f64 v[24:25], v[14:15], s[44:45]
	v_fma_f64 v[20:21], v[12:13], s[44:45], -v[20:21]
	v_add_f64 v[18:19], v[18:19], v[26:27]
	v_fma_f64 v[26:27], s[52:53], v[0:1], v[24:25]
	v_add_f64 v[20:21], v[20:21], v[28:29]
	v_fmac_f64_e32 v[24:25], s[40:41], v[0:1]
	v_mul_f64 v[28:29], v[2:3], s[38:39]
	v_add_f64 v[22:23], v[22:23], v[30:31]
	v_add_f64 v[24:25], v[24:25], v[38:39]
	v_fma_f64 v[30:31], s[22:23], v[12:13], v[28:29]
	v_mul_f64 v[38:39], v[14:15], s[22:23]
	v_fma_f64 v[28:29], v[12:13], s[22:23], -v[28:29]
	v_add_f64 v[26:27], v[26:27], v[42:43]
	;; [unrolled: 10-line block ×5, first 2 shown]
	v_fma_f64 v[64:65], s[46:47], v[0:1], v[62:63]
	v_add_f64 v[58:59], v[58:59], v[66:67]
	v_fmac_f64_e32 v[62:63], s[34:35], v[0:1]
	v_mul_f64 v[66:67], v[2:3], s[54:55]
	v_add_f64 v[60:61], v[60:61], v[68:69]
	v_add_f64 v[62:63], v[62:63], v[70:71]
	v_fma_f64 v[68:69], s[30:31], v[12:13], v[66:67]
	v_mul_f64 v[70:71], v[14:15], s[30:31]
	v_mul_f64 v[14:15], v[14:15], s[20:21]
	v_add_f64 v[86:87], v[86:87], v[162:163]
	v_add_f64 v[68:69], v[68:69], v[76:77]
	v_fma_f64 v[76:77], s[18:19], v[0:1], v[14:15]
	v_fmac_f64_e32 v[14:15], s[50:51], v[0:1]
	v_add_f64 v[156:157], v[156:157], v[180:181]
	v_add_f64 v[78:79], v[78:79], v[86:87]
	;; [unrolled: 1-line block ×3, first 2 shown]
	v_fma_f64 v[72:73], s[28:29], v[0:1], v[70:71]
	v_fma_f64 v[66:67], v[12:13], s[30:31], -v[66:67]
	v_fmac_f64_e32 v[70:71], s[54:55], v[0:1]
	v_mul_f64 v[2:3], v[2:3], s[50:51]
	v_add_f64 v[0:1], v[14:15], v[8:9]
	v_add_f64 v[14:15], v[250:251], -v[254:255]
	v_add_f64 v[80:81], v[80:81], v[156:157]
	v_add_f64 v[66:67], v[66:67], v[74:75]
	;; [unrolled: 1-line block ×3, first 2 shown]
	v_fma_f64 v[74:75], s[20:21], v[12:13], v[2:3]
	v_fma_f64 v[2:3], v[12:13], s[20:21], -v[2:3]
	v_add_f64 v[8:9], v[248:249], v[252:253]
	v_mul_f64 v[78:79], v[14:15], s[16:17]
	v_add_f64 v[158:159], v[158:159], v[182:183]
	v_add_f64 v[72:73], v[72:73], v[80:81]
	v_add_f64 v[2:3], v[2:3], v[10:11]
	v_add_f64 v[10:11], v[250:251], v[254:255]
	v_fma_f64 v[80:81], s[22:23], v[8:9], v[78:79]
	v_add_f64 v[82:83], v[82:83], v[158:159]
	v_add_f64 v[12:13], v[248:249], -v[252:253]
	v_add_f64 v[6:7], v[80:81], v[6:7]
	v_mul_f64 v[80:81], v[10:11], s[22:23]
	v_fma_f64 v[78:79], v[8:9], s[22:23], -v[78:79]
	v_add_f64 v[74:75], v[74:75], v[82:83]
	v_fma_f64 v[82:83], s[38:39], v[12:13], v[80:81]
	v_add_f64 v[4:5], v[78:79], v[4:5]
	v_fmac_f64_e32 v[80:81], s[16:17], v[12:13]
	v_mul_f64 v[78:79], v[14:15], s[46:47]
	v_add_f64 v[16:17], v[80:81], v[16:17]
	v_fma_f64 v[80:81], s[36:37], v[8:9], v[78:79]
	v_add_f64 v[22:23], v[80:81], v[22:23]
	v_mul_f64 v[80:81], v[10:11], s[36:37]
	v_fma_f64 v[78:79], v[8:9], s[36:37], -v[78:79]
	v_add_f64 v[18:19], v[82:83], v[18:19]
	v_fma_f64 v[82:83], s[34:35], v[12:13], v[80:81]
	v_add_f64 v[20:21], v[78:79], v[20:21]
	v_fmac_f64_e32 v[80:81], s[46:47], v[12:13]
	v_mul_f64 v[78:79], v[14:15], s[50:51]
	v_add_f64 v[24:25], v[80:81], v[24:25]
	v_fma_f64 v[80:81], s[20:21], v[8:9], v[78:79]
	;; [unrolled: 10-line block ×5, first 2 shown]
	v_add_f64 v[60:61], v[80:81], v[60:61]
	v_mul_f64 v[80:81], v[10:11], s[10:11]
	v_fma_f64 v[78:79], v[8:9], s[10:11], -v[78:79]
	v_add_f64 v[56:57], v[82:83], v[56:57]
	v_fma_f64 v[82:83], s[8:9], v[12:13], v[80:81]
	v_add_f64 v[58:59], v[78:79], v[58:59]
	v_fmac_f64_e32 v[80:81], s[56:57], v[12:13]
	v_mul_f64 v[78:79], v[14:15], s[24:25]
	v_add_f64 v[160:161], v[160:161], v[184:185]
	v_add_f64 v[62:63], v[80:81], v[62:63]
	v_fma_f64 v[80:81], s[26:27], v[8:9], v[78:79]
	v_fma_f64 v[78:79], v[8:9], s[26:27], -v[78:79]
	v_mul_f64 v[14:15], v[14:15], s[28:29]
	v_add_f64 v[84:85], v[84:85], v[160:161]
	v_add_f64 v[68:69], v[80:81], v[68:69]
	v_mul_f64 v[80:81], v[10:11], s[26:27]
	v_add_f64 v[66:67], v[78:79], v[66:67]
	v_fma_f64 v[78:79], s[30:31], v[8:9], v[14:15]
	v_mul_f64 v[10:11], v[10:11], s[30:31]
	v_add_f64 v[76:77], v[76:77], v[84:85]
	v_add_f64 v[74:75], v[78:79], v[74:75]
	v_fma_f64 v[78:79], s[54:55], v[12:13], v[10:11]
	v_fma_f64 v[8:9], v[8:9], s[30:31], -v[14:15]
	v_add_f64 v[14:15], v[242:243], -v[246:247]
	v_add_f64 v[64:65], v[82:83], v[64:65]
	v_fma_f64 v[82:83], s[48:49], v[12:13], v[80:81]
	v_fmac_f64_e32 v[80:81], s[24:25], v[12:13]
	v_add_f64 v[76:77], v[78:79], v[76:77]
	v_add_f64 v[2:3], v[8:9], v[2:3]
	v_fmac_f64_e32 v[10:11], s[28:29], v[12:13]
	v_add_f64 v[8:9], v[240:241], v[244:245]
	v_mul_f64 v[78:79], v[14:15], s[28:29]
	v_add_f64 v[70:71], v[80:81], v[70:71]
	v_add_f64 v[0:1], v[10:11], v[0:1]
	;; [unrolled: 1-line block ×3, first 2 shown]
	v_fma_f64 v[80:81], s[30:31], v[8:9], v[78:79]
	v_add_f64 v[12:13], v[240:241], -v[244:245]
	v_add_f64 v[6:7], v[80:81], v[6:7]
	v_mul_f64 v[80:81], v[10:11], s[30:31]
	v_fma_f64 v[78:79], v[8:9], s[30:31], -v[78:79]
	v_add_f64 v[72:73], v[82:83], v[72:73]
	v_fma_f64 v[82:83], s[54:55], v[12:13], v[80:81]
	v_add_f64 v[4:5], v[78:79], v[4:5]
	v_fmac_f64_e32 v[80:81], s[28:29], v[12:13]
	v_mul_f64 v[78:79], v[14:15], s[38:39]
	v_add_f64 v[16:17], v[80:81], v[16:17]
	v_fma_f64 v[80:81], s[22:23], v[8:9], v[78:79]
	v_add_f64 v[22:23], v[80:81], v[22:23]
	v_mul_f64 v[80:81], v[10:11], s[22:23]
	v_fma_f64 v[78:79], v[8:9], s[22:23], -v[78:79]
	v_add_f64 v[18:19], v[82:83], v[18:19]
	v_fma_f64 v[82:83], s[16:17], v[12:13], v[80:81]
	v_add_f64 v[20:21], v[78:79], v[20:21]
	v_fmac_f64_e32 v[80:81], s[38:39], v[12:13]
	v_mul_f64 v[78:79], v[14:15], s[24:25]
	v_add_f64 v[24:25], v[80:81], v[24:25]
	v_fma_f64 v[80:81], s[26:27], v[8:9], v[78:79]
	v_add_f64 v[30:31], v[80:81], v[30:31]
	v_mul_f64 v[80:81], v[10:11], s[26:27]
	v_fma_f64 v[78:79], v[8:9], s[26:27], -v[78:79]
	v_add_f64 v[26:27], v[82:83], v[26:27]
	v_fma_f64 v[82:83], s[48:49], v[12:13], v[80:81]
	v_add_f64 v[28:29], v[78:79], v[28:29]
	v_fmac_f64_e32 v[80:81], s[24:25], v[12:13]
	v_mul_f64 v[78:79], v[14:15], s[34:35]
	v_add_f64 v[38:39], v[80:81], v[38:39]
	v_fma_f64 v[80:81], s[36:37], v[8:9], v[78:79]
	v_add_f64 v[44:45], v[80:81], v[44:45]
	v_mul_f64 v[80:81], v[10:11], s[36:37]
	v_fma_f64 v[78:79], v[8:9], s[36:37], -v[78:79]
	v_add_f64 v[42:43], v[82:83], v[42:43]
	v_fma_f64 v[82:83], s[46:47], v[12:13], v[80:81]
	v_add_f64 v[40:41], v[78:79], v[40:41]
	v_fmac_f64_e32 v[80:81], s[34:35], v[12:13]
	v_mul_f64 v[78:79], v[14:15], s[56:57]
	v_add_f64 v[46:47], v[80:81], v[46:47]
	v_fma_f64 v[80:81], s[10:11], v[8:9], v[78:79]
	v_add_f64 v[52:53], v[80:81], v[52:53]
	v_mul_f64 v[80:81], v[10:11], s[10:11]
	v_fma_f64 v[78:79], v[8:9], s[10:11], -v[78:79]
	v_add_f64 v[48:49], v[82:83], v[48:49]
	v_fma_f64 v[82:83], s[8:9], v[12:13], v[80:81]
	v_add_f64 v[50:51], v[78:79], v[50:51]
	v_fmac_f64_e32 v[80:81], s[56:57], v[12:13]
	v_mul_f64 v[78:79], v[14:15], s[18:19]
	v_add_f64 v[54:55], v[80:81], v[54:55]
	v_fma_f64 v[80:81], s[20:21], v[8:9], v[78:79]
	v_add_f64 v[60:61], v[80:81], v[60:61]
	v_mul_f64 v[80:81], v[10:11], s[20:21]
	v_fma_f64 v[78:79], v[8:9], s[20:21], -v[78:79]
	v_add_f64 v[56:57], v[82:83], v[56:57]
	v_fma_f64 v[82:83], s[50:51], v[12:13], v[80:81]
	v_add_f64 v[58:59], v[78:79], v[58:59]
	v_fmac_f64_e32 v[80:81], s[18:19], v[12:13]
	v_mul_f64 v[78:79], v[14:15], s[40:41]
	v_add_f64 v[62:63], v[80:81], v[62:63]
	v_fma_f64 v[80:81], s[44:45], v[8:9], v[78:79]
	v_fma_f64 v[78:79], v[8:9], s[44:45], -v[78:79]
	v_mul_f64 v[14:15], v[14:15], s[42:43]
	v_add_f64 v[68:69], v[80:81], v[68:69]
	v_mul_f64 v[80:81], v[10:11], s[44:45]
	v_add_f64 v[66:67], v[78:79], v[66:67]
	v_fma_f64 v[78:79], s[14:15], v[8:9], v[14:15]
	v_mul_f64 v[10:11], v[10:11], s[14:15]
	v_add_f64 v[74:75], v[78:79], v[74:75]
	v_fma_f64 v[78:79], s[12:13], v[12:13], v[10:11]
	v_fma_f64 v[8:9], v[8:9], s[14:15], -v[14:15]
	v_add_f64 v[14:15], v[230:231], -v[238:239]
	v_add_f64 v[64:65], v[82:83], v[64:65]
	v_fma_f64 v[82:83], s[52:53], v[12:13], v[80:81]
	v_fmac_f64_e32 v[80:81], s[40:41], v[12:13]
	v_add_f64 v[76:77], v[78:79], v[76:77]
	v_add_f64 v[2:3], v[8:9], v[2:3]
	v_fmac_f64_e32 v[10:11], s[42:43], v[12:13]
	v_add_f64 v[8:9], v[228:229], v[236:237]
	v_mul_f64 v[78:79], v[14:15], s[34:35]
	v_add_f64 v[70:71], v[80:81], v[70:71]
	v_add_f64 v[0:1], v[10:11], v[0:1]
	v_add_f64 v[10:11], v[230:231], v[238:239]
	v_fma_f64 v[80:81], s[36:37], v[8:9], v[78:79]
	v_add_f64 v[12:13], v[228:229], -v[236:237]
	v_add_f64 v[6:7], v[80:81], v[6:7]
	v_mul_f64 v[80:81], v[10:11], s[36:37]
	v_fma_f64 v[78:79], v[8:9], s[36:37], -v[78:79]
	v_add_f64 v[72:73], v[82:83], v[72:73]
	v_fma_f64 v[82:83], s[46:47], v[12:13], v[80:81]
	v_add_f64 v[4:5], v[78:79], v[4:5]
	v_fmac_f64_e32 v[80:81], s[34:35], v[12:13]
	v_mul_f64 v[78:79], v[14:15], s[42:43]
	v_add_f64 v[16:17], v[80:81], v[16:17]
	v_fma_f64 v[80:81], s[14:15], v[8:9], v[78:79]
	v_add_f64 v[22:23], v[80:81], v[22:23]
	v_mul_f64 v[80:81], v[10:11], s[14:15]
	v_fma_f64 v[78:79], v[8:9], s[14:15], -v[78:79]
	v_add_f64 v[18:19], v[82:83], v[18:19]
	v_fma_f64 v[82:83], s[12:13], v[12:13], v[80:81]
	v_add_f64 v[20:21], v[78:79], v[20:21]
	v_fmac_f64_e32 v[80:81], s[42:43], v[12:13]
	v_mul_f64 v[78:79], v[14:15], s[8:9]
	v_add_f64 v[24:25], v[80:81], v[24:25]
	v_fma_f64 v[80:81], s[10:11], v[8:9], v[78:79]
	;; [unrolled: 10-line block ×6, first 2 shown]
	v_fma_f64 v[78:79], v[8:9], s[20:21], -v[78:79]
	v_mul_f64 v[14:15], v[14:15], s[16:17]
	v_add_f64 v[68:69], v[80:81], v[68:69]
	v_mul_f64 v[80:81], v[10:11], s[20:21]
	v_add_f64 v[66:67], v[78:79], v[66:67]
	v_fma_f64 v[78:79], s[22:23], v[8:9], v[14:15]
	v_mul_f64 v[10:11], v[10:11], s[22:23]
	v_add_f64 v[64:65], v[82:83], v[64:65]
	v_fma_f64 v[82:83], s[18:19], v[12:13], v[80:81]
	v_add_f64 v[74:75], v[78:79], v[74:75]
	v_fma_f64 v[78:79], s[38:39], v[12:13], v[10:11]
	v_fma_f64 v[8:9], v[8:9], s[22:23], -v[14:15]
	v_add_f64 v[156:157], v[222:223], -v[226:227]
	v_add_f64 v[72:73], v[82:83], v[72:73]
	v_fmac_f64_e32 v[80:81], s[50:51], v[12:13]
	v_add_f64 v[76:77], v[78:79], v[76:77]
	v_add_f64 v[78:79], v[8:9], v[2:3]
	v_fmac_f64_e32 v[10:11], s[16:17], v[12:13]
	v_add_f64 v[82:83], v[220:221], v[224:225]
	v_mul_f64 v[8:9], v[156:157], s[40:41]
	v_add_f64 v[70:71], v[80:81], v[70:71]
	v_add_f64 v[80:81], v[10:11], v[0:1]
	;; [unrolled: 1-line block ×3, first 2 shown]
	v_fma_f64 v[0:1], s[44:45], v[82:83], v[8:9]
	v_fma_f64 v[8:9], v[82:83], s[44:45], -v[8:9]
	v_add_f64 v[86:87], v[220:221], -v[224:225]
	v_add_f64 v[0:1], v[0:1], v[6:7]
	v_mul_f64 v[6:7], v[84:85], s[44:45]
	v_add_f64 v[224:225], v[8:9], v[4:5]
	v_mul_f64 v[8:9], v[156:157], s[48:49]
	v_fma_f64 v[2:3], s[52:53], v[86:87], v[6:7]
	v_fmac_f64_e32 v[6:7], s[40:41], v[86:87]
	v_fma_f64 v[4:5], s[26:27], v[82:83], v[8:9]
	v_mul_f64 v[10:11], v[84:85], s[26:27]
	v_fma_f64 v[8:9], v[82:83], s[26:27], -v[8:9]
	v_mul_f64 v[12:13], v[156:157], s[34:35]
	v_add_f64 v[226:227], v[6:7], v[16:17]
	v_fma_f64 v[6:7], s[24:25], v[86:87], v[10:11]
	v_add_f64 v[228:229], v[8:9], v[20:21]
	v_fmac_f64_e32 v[10:11], s[48:49], v[86:87]
	v_fma_f64 v[8:9], s[36:37], v[82:83], v[12:13]
	v_mul_f64 v[14:15], v[84:85], s[36:37]
	v_fma_f64 v[12:13], v[82:83], s[36:37], -v[12:13]
	v_mul_f64 v[16:17], v[156:157], s[50:51]
	v_add_f64 v[2:3], v[2:3], v[18:19]
	v_add_f64 v[6:7], v[6:7], v[26:27]
	;; [unrolled: 1-line block ×3, first 2 shown]
	v_fma_f64 v[10:11], s[46:47], v[86:87], v[14:15]
	v_add_f64 v[220:221], v[12:13], v[28:29]
	v_fmac_f64_e32 v[14:15], s[34:35], v[86:87]
	v_fma_f64 v[12:13], s[20:21], v[82:83], v[16:17]
	v_mul_f64 v[18:19], v[84:85], s[20:21]
	v_fma_f64 v[16:17], v[82:83], s[20:21], -v[16:17]
	v_mul_f64 v[26:27], v[84:85], s[30:31]
	v_add_f64 v[4:5], v[4:5], v[22:23]
	v_add_f64 v[222:223], v[14:15], v[38:39]
	v_fma_f64 v[14:15], s[18:19], v[86:87], v[18:19]
	v_add_f64 v[16:17], v[16:17], v[40:41]
	v_fmac_f64_e32 v[18:19], s[50:51], v[86:87]
	v_mul_f64 v[24:25], v[156:157], s[28:29]
	v_fma_f64 v[22:23], s[54:55], v[86:87], v[26:27]
	v_fmac_f64_e32 v[26:27], s[28:29], v[86:87]
	v_mul_f64 v[38:39], v[156:157], s[42:43]
	v_mul_f64 v[40:41], v[84:85], s[14:15]
	v_add_f64 v[8:9], v[8:9], v[30:31]
	v_add_f64 v[14:15], v[14:15], v[48:49]
	;; [unrolled: 1-line block ×3, first 2 shown]
	v_fma_f64 v[20:21], s[30:31], v[82:83], v[24:25]
	v_add_f64 v[22:23], v[22:23], v[56:57]
	v_fma_f64 v[24:25], v[82:83], s[30:31], -v[24:25]
	v_add_f64 v[26:27], v[26:27], v[54:55]
	v_fma_f64 v[28:29], s[14:15], v[82:83], v[38:39]
	v_fma_f64 v[30:31], s[12:13], v[86:87], v[40:41]
	v_mul_f64 v[46:47], v[156:157], s[16:17]
	v_mul_f64 v[48:49], v[84:85], s[22:23]
	;; [unrolled: 1-line block ×4, first 2 shown]
	v_add_f64 v[10:11], v[10:11], v[42:43]
	v_add_f64 v[12:13], v[12:13], v[44:45]
	;; [unrolled: 1-line block ×6, first 2 shown]
	v_fma_f64 v[38:39], v[82:83], s[14:15], -v[38:39]
	v_fmac_f64_e32 v[40:41], s[42:43], v[86:87]
	v_fma_f64 v[42:43], s[22:23], v[82:83], v[46:47]
	v_fma_f64 v[44:45], s[38:39], v[86:87], v[48:49]
	v_fma_f64 v[46:47], v[82:83], s[22:23], -v[46:47]
	v_fmac_f64_e32 v[48:49], s[16:17], v[86:87]
	v_fma_f64 v[50:51], s[10:11], v[82:83], v[54:55]
	v_fma_f64 v[52:53], s[8:9], v[86:87], v[56:57]
	v_fma_f64 v[54:55], v[82:83], s[10:11], -v[54:55]
	v_fmac_f64_e32 v[56:57], s[56:57], v[86:87]
	v_add_f64 v[38:39], v[38:39], v[58:59]
	v_add_f64 v[40:41], v[40:41], v[62:63]
	;; [unrolled: 1-line block ×10, first 2 shown]
	s_barrier
	ds_write_b128 v35, v[232:235]
	ds_write_b128 v35, v[0:3] offset:16
	ds_write_b128 v35, v[4:7] offset:32
	;; [unrolled: 1-line block ×16, first 2 shown]
	s_waitcnt lgkmcnt(0)
	s_barrier
	ds_read_b128 v[0:3], v32
	ds_read_b128 v[232:235], v32 offset:1904
	ds_read_b128 v[28:31], v32 offset:4624
	;; [unrolled: 1-line block ×13, first 2 shown]
	s_and_saveexec_b64 s[0:1], vcc
	s_cbranch_execz .LBB0_7
; %bb.6:
	ds_read_b128 v[220:223], v32 offset:3808
	ds_read_b128 v[228:231], v32 offset:8432
	;; [unrolled: 1-line block ×7, first 2 shown]
.LBB0_7:
	s_or_b64 exec, exec, s[0:1]
	s_waitcnt lgkmcnt(11)
	v_mul_f64 v[38:39], v[118:119], v[30:31]
	v_fmac_f64_e32 v[38:39], v[116:117], v[28:29]
	v_mul_f64 v[28:29], v[118:119], v[28:29]
	v_fma_f64 v[28:29], v[116:117], v[30:31], -v[28:29]
	s_waitcnt lgkmcnt(9)
	v_mul_f64 v[30:31], v[106:107], v[26:27]
	v_fmac_f64_e32 v[30:31], v[104:105], v[24:25]
	v_mul_f64 v[24:25], v[106:107], v[24:25]
	v_fma_f64 v[24:25], v[104:105], v[26:27], -v[24:25]
	s_waitcnt lgkmcnt(7)
	v_mul_f64 v[26:27], v[94:95], v[22:23]
	v_fmac_f64_e32 v[26:27], v[92:93], v[20:21]
	v_mul_f64 v[20:21], v[94:95], v[20:21]
	s_waitcnt lgkmcnt(1)
	v_mul_f64 v[42:43], v[102:103], v[14:15]
	v_fma_f64 v[20:21], v[92:93], v[22:23], -v[20:21]
	v_mul_f64 v[22:23], v[90:91], v[18:19]
	v_fmac_f64_e32 v[42:43], v[100:101], v[12:13]
	v_mul_f64 v[12:13], v[102:103], v[12:13]
	v_fmac_f64_e32 v[22:23], v[88:89], v[16:17]
	v_mul_f64 v[16:17], v[90:91], v[16:17]
	v_fma_f64 v[12:13], v[100:101], v[14:15], -v[12:13]
	v_mul_f64 v[14:15], v[134:135], v[248:249]
	v_fma_f64 v[16:17], v[88:89], v[18:19], -v[16:17]
	v_mul_f64 v[18:19], v[114:115], v[254:255]
	v_fma_f64 v[46:47], v[132:133], v[250:251], -v[14:15]
	v_mul_f64 v[14:15], v[126:127], v[244:245]
	v_mul_f64 v[60:61], v[130:131], v[10:11]
	s_waitcnt lgkmcnt(0)
	v_mul_f64 v[64:65], v[122:123], v[6:7]
	v_fmac_f64_e32 v[18:19], v[112:113], v[252:253]
	v_mul_f64 v[40:41], v[114:115], v[252:253]
	v_fma_f64 v[50:51], v[124:125], v[246:247], -v[14:15]
	v_mul_f64 v[14:15], v[110:111], v[240:241]
	v_fmac_f64_e32 v[60:61], v[128:129], v[8:9]
	v_mul_f64 v[8:9], v[130:131], v[8:9]
	v_fmac_f64_e32 v[64:65], v[120:121], v[4:5]
	v_mul_f64 v[4:5], v[122:123], v[4:5]
	v_fma_f64 v[40:41], v[112:113], v[254:255], -v[40:41]
	v_fma_f64 v[54:55], v[108:109], v[242:243], -v[14:15]
	v_mul_f64 v[14:15], v[98:99], v[236:237]
	v_fma_f64 v[62:63], v[128:129], v[10:11], -v[8:9]
	v_fma_f64 v[66:67], v[120:121], v[6:7], -v[4:5]
	v_add_f64 v[4:5], v[38:39], v[42:43]
	v_add_f64 v[6:7], v[28:29], v[12:13]
	v_add_f64 v[10:11], v[28:29], -v[12:13]
	v_add_f64 v[12:13], v[30:31], v[18:19]
	v_fma_f64 v[58:59], v[96:97], v[238:239], -v[14:15]
	v_add_f64 v[14:15], v[24:25], v[40:41]
	v_add_f64 v[18:19], v[30:31], -v[18:19]
	v_add_f64 v[28:29], v[26:27], v[22:23]
	v_add_f64 v[30:31], v[20:21], v[16:17]
	v_add_f64 v[16:17], v[16:17], -v[20:21]
	v_add_f64 v[20:21], v[12:13], v[4:5]
	v_add_f64 v[22:23], v[22:23], -v[26:27]
	v_add_f64 v[26:27], v[14:15], v[6:7]
	v_add_f64 v[20:21], v[28:29], v[20:21]
	v_add_f64 v[24:25], v[24:25], -v[40:41]
	v_add_f64 v[26:27], v[30:31], v[26:27]
	v_add_f64 v[0:1], v[0:1], v[20:21]
	s_mov_b32 s10, 0x37e14327
	s_mov_b32 s12, 0x36b3c0b5
	;; [unrolled: 1-line block ×5, first 2 shown]
	v_add_f64 v[8:9], v[38:39], -v[42:43]
	v_add_f64 v[38:39], v[12:13], -v[4:5]
	v_add_f64 v[40:41], v[14:15], -v[6:7]
	v_add_f64 v[4:5], v[4:5], -v[28:29]
	v_add_f64 v[6:7], v[6:7], -v[30:31]
	v_add_f64 v[12:13], v[28:29], -v[12:13]
	v_add_f64 v[14:15], v[30:31], -v[14:15]
	v_add_f64 v[42:43], v[22:23], v[18:19]
	v_add_f64 v[68:69], v[16:17], v[24:25]
	v_add_f64 v[70:71], v[22:23], -v[18:19]
	v_add_f64 v[72:73], v[16:17], -v[24:25]
	;; [unrolled: 1-line block ×3, first 2 shown]
	v_add_f64 v[2:3], v[2:3], v[26:27]
	s_mov_b32 s11, 0x3fe948f6
	s_mov_b32 s13, 0x3fac98ee
	;; [unrolled: 1-line block ×5, first 2 shown]
	v_mov_b64_e32 v[74:75], v[0:1]
	s_mov_b32 s8, 0x5476071b
	s_mov_b32 s24, 0xb247c609
	v_add_f64 v[22:23], v[8:9], -v[22:23]
	v_add_f64 v[16:17], v[10:11], -v[16:17]
	;; [unrolled: 1-line block ×3, first 2 shown]
	v_add_f64 v[8:9], v[42:43], v[8:9]
	v_add_f64 v[10:11], v[68:69], v[10:11]
	v_mul_f64 v[4:5], v[4:5], s[10:11]
	v_mul_f64 v[6:7], v[6:7], s[10:11]
	;; [unrolled: 1-line block ×7, first 2 shown]
	v_fmac_f64_e32 v[74:75], s[22:23], v[20:21]
	v_mov_b64_e32 v[20:21], v[2:3]
	s_mov_b32 s9, 0x3fe77f67
	s_mov_b32 s17, 0xbfe77f67
	;; [unrolled: 1-line block ×7, first 2 shown]
	v_mul_f64 v[44:45], v[134:135], v[250:251]
	v_mul_f64 v[48:49], v[126:127], v[246:247]
	;; [unrolled: 1-line block ×3, first 2 shown]
	v_fmac_f64_e32 v[20:21], s[22:23], v[26:27]
	v_fma_f64 v[26:27], v[38:39], s[8:9], -v[28:29]
	v_fma_f64 v[28:29], v[40:41], s[8:9], -v[30:31]
	v_fma_f64 v[30:31], v[38:39], s[16:17], -v[4:5]
	v_fmac_f64_e32 v[4:5], s[12:13], v[12:13]
	v_fma_f64 v[12:13], v[40:41], s[16:17], -v[6:7]
	v_fmac_f64_e32 v[6:7], s[12:13], v[14:15]
	v_fma_f64 v[18:19], v[18:19], s[0:1], -v[42:43]
	;; [unrolled: 2-line block ×3, first 2 shown]
	s_mov_b32 s19, 0xbfdc38aa
	v_fmac_f64_e32 v[44:45], v[132:133], v[248:249]
	v_fmac_f64_e32 v[48:49], v[124:125], v[244:245]
	v_mul_f64 v[52:53], v[110:111], v[242:243]
	v_mul_f64 v[56:57], v[98:99], v[238:239]
	v_fma_f64 v[24:25], v[24:25], s[0:1], -v[68:69]
	v_fmac_f64_e32 v[68:69], s[24:25], v[16:17]
	v_fma_f64 v[22:23], v[22:23], s[20:21], -v[70:71]
	v_add_f64 v[70:71], v[6:7], v[20:21]
	v_add_f64 v[16:17], v[26:27], v[74:75]
	;; [unrolled: 1-line block ×4, first 2 shown]
	v_fmac_f64_e32 v[42:43], s[18:19], v[8:9]
	v_fmac_f64_e32 v[18:19], s[18:19], v[8:9]
	;; [unrolled: 1-line block ×5, first 2 shown]
	v_add_f64 v[40:41], v[4:5], v[74:75]
	v_add_f64 v[30:31], v[12:13], v[20:21]
	v_fmac_f64_e32 v[68:69], s[18:19], v[10:11]
	v_fmac_f64_e32 v[24:25], s[18:19], v[10:11]
	;; [unrolled: 1-line block ×3, first 2 shown]
	v_add_f64 v[6:7], v[70:71], -v[42:43]
	v_add_f64 v[8:9], v[38:39], v[28:29]
	v_add_f64 v[14:15], v[18:19], v[26:27]
	v_add_f64 v[18:19], v[26:27], -v[18:19]
	v_add_f64 v[20:21], v[28:29], -v[38:39]
	v_add_f64 v[26:27], v[42:43], v[70:71]
	v_add_f64 v[28:29], v[44:45], v[64:65]
	;; [unrolled: 1-line block ×4, first 2 shown]
	v_add_f64 v[10:11], v[30:31], -v[22:23]
	v_add_f64 v[12:13], v[16:17], -v[24:25]
	v_add_f64 v[16:17], v[24:25], v[16:17]
	v_add_f64 v[22:23], v[22:23], v[30:31]
	v_add_f64 v[24:25], v[40:41], -v[68:69]
	v_add_f64 v[30:31], v[46:47], v[66:67]
	v_add_f64 v[38:39], v[44:45], -v[64:65]
	v_add_f64 v[40:41], v[46:47], -v[66:67]
	v_add_f64 v[44:45], v[50:51], v[62:63]
	v_add_f64 v[46:47], v[48:49], -v[60:61]
	;; [unrolled: 3-line block ×3, first 2 shown]
	v_add_f64 v[56:57], v[42:43], v[28:29]
	v_add_f64 v[60:61], v[54:55], v[58:59]
	v_add_f64 v[54:55], v[58:59], -v[54:55]
	v_add_f64 v[58:59], v[44:45], v[30:31]
	v_add_f64 v[62:63], v[42:43], -v[28:29]
	v_add_f64 v[66:67], v[28:29], -v[50:51]
	;; [unrolled: 1-line block ×3, first 2 shown]
	v_add_f64 v[28:29], v[52:53], v[46:47]
	v_add_f64 v[50:51], v[50:51], v[56:57]
	v_add_f64 v[64:65], v[44:45], -v[30:31]
	v_add_f64 v[68:69], v[30:31], -v[60:61]
	v_add_f64 v[30:31], v[54:55], v[48:49]
	v_add_f64 v[70:71], v[52:53], -v[46:47]
	v_add_f64 v[52:53], v[38:39], -v[52:53]
	;; [unrolled: 1-line block ×3, first 2 shown]
	v_add_f64 v[56:57], v[60:61], v[58:59]
	v_add_f64 v[38:39], v[28:29], v[38:39]
	;; [unrolled: 1-line block ×3, first 2 shown]
	v_add_f64 v[44:45], v[60:61], -v[44:45]
	v_add_f64 v[72:73], v[54:55], -v[48:49]
	;; [unrolled: 1-line block ×4, first 2 shown]
	v_add_f64 v[40:41], v[30:31], v[40:41]
	v_add_f64 v[30:31], v[234:235], v[56:57]
	v_mov_b64_e32 v[78:79], v[28:29]
	v_mul_f64 v[58:59], v[66:67], s[10:11]
	v_mul_f64 v[60:61], v[68:69], s[10:11]
	;; [unrolled: 1-line block ×8, first 2 shown]
	v_fmac_f64_e32 v[78:79], s[22:23], v[50:51]
	v_mov_b64_e32 v[50:51], v[30:31]
	v_fmac_f64_e32 v[50:51], s[22:23], v[56:57]
	v_fma_f64 v[56:57], v[62:63], s[8:9], -v[66:67]
	v_fma_f64 v[66:67], v[64:65], s[8:9], -v[68:69]
	;; [unrolled: 1-line block ×3, first 2 shown]
	v_fmac_f64_e32 v[58:59], s[12:13], v[42:43]
	v_fma_f64 v[42:43], v[64:65], s[16:17], -v[60:61]
	v_fmac_f64_e32 v[60:61], s[12:13], v[44:45]
	v_fma_f64 v[64:65], v[46:47], s[0:1], -v[70:71]
	v_fmac_f64_e32 v[70:71], s[24:25], v[52:53]
	v_fma_f64 v[68:69], v[48:49], s[0:1], -v[72:73]
	v_fmac_f64_e32 v[72:73], s[24:25], v[54:55]
	v_fma_f64 v[74:75], v[52:53], s[20:21], -v[74:75]
	v_fma_f64 v[54:55], v[54:55], s[20:21], -v[76:77]
	v_add_f64 v[58:59], v[58:59], v[78:79]
	v_add_f64 v[60:61], v[60:61], v[50:51]
	;; [unrolled: 1-line block ×6, first 2 shown]
	v_fmac_f64_e32 v[70:71], s[18:19], v[38:39]
	v_fmac_f64_e32 v[72:73], s[18:19], v[40:41]
	;; [unrolled: 1-line block ×6, first 2 shown]
	v_add_f64 v[38:39], v[72:73], v[58:59]
	v_add_f64 v[40:41], v[60:61], -v[70:71]
	v_add_f64 v[42:43], v[54:55], v[62:63]
	v_add_f64 v[44:45], v[66:67], -v[74:75]
	v_add_f64 v[46:47], v[52:53], -v[68:69]
	v_add_f64 v[48:49], v[64:65], v[56:57]
	v_add_f64 v[50:51], v[68:69], v[52:53]
	v_add_f64 v[52:53], v[56:57], -v[64:65]
	v_add_f64 v[54:55], v[62:63], -v[54:55]
	v_add_f64 v[56:57], v[74:75], v[66:67]
	v_add_f64 v[58:59], v[58:59], -v[72:73]
	v_add_f64 v[60:61], v[70:71], v[60:61]
	s_barrier
	ds_write_b128 v34, v[0:3]
	ds_write_b128 v34, v[4:7] offset:272
	ds_write_b128 v34, v[8:11] offset:544
	;; [unrolled: 1-line block ×6, first 2 shown]
	ds_write_b128 v36, v[28:31]
	ds_write_b128 v36, v[38:41] offset:272
	ds_write_b128 v36, v[42:45] offset:544
	;; [unrolled: 1-line block ×6, first 2 shown]
	s_and_saveexec_b64 s[26:27], vcc
	s_cbranch_execz .LBB0_9
; %bb.8:
	v_accvgpr_read_b32 v34, a84
	v_accvgpr_read_b32 v28, a88
	;; [unrolled: 1-line block ×28, first 2 shown]
	v_mul_f64 v[0:1], v[36:37], v[230:231]
	v_accvgpr_read_b32 v29, a89
	v_accvgpr_read_b32 v65, a105
	v_mul_f64 v[4:5], v[30:31], v[66:67]
	v_accvgpr_read_b32 v45, a73
	v_accvgpr_read_b32 v57, a97
	v_mul_f64 v[10:11], v[46:47], v[58:59]
	v_accvgpr_read_b32 v49, a77
	v_accvgpr_read_b32 v53, a93
	v_mul_f64 v[12:13], v[50:51], v[54:55]
	v_accvgpr_read_b32 v39, a81
	v_mul_f64 v[16:17], v[40:41], v[226:227]
	v_accvgpr_read_b32 v61, a101
	v_mul_f64 v[18:19], v[138:139], v[62:63]
	v_fmac_f64_e32 v[0:1], v[34:35], v[228:229]
	v_fmac_f64_e32 v[4:5], v[28:29], v[64:65]
	;; [unrolled: 1-line block ×6, first 2 shown]
	v_add_f64 v[8:9], v[0:1], -v[4:5]
	v_add_f64 v[2:3], v[10:11], -v[12:13]
	;; [unrolled: 1-line block ×5, first 2 shown]
	v_add_f64 v[2:3], v[2:3], v[20:21]
	v_add_f64 v[26:27], v[2:3], v[8:9]
	v_mul_f64 v[2:3], v[30:31], v[64:65]
	v_fma_f64 v[28:29], v[28:29], v[66:67], -v[2:3]
	v_mul_f64 v[2:3], v[36:37], v[228:229]
	v_fma_f64 v[30:31], v[34:35], v[230:231], -v[2:3]
	v_mul_f64 v[2:3], v[138:139], v[60:61]
	v_mul_f64 v[22:23], v[6:7], s[14:15]
	v_fma_f64 v[36:37], v[136:137], v[62:63], -v[2:3]
	v_mul_f64 v[2:3], v[40:41], v[224:225]
	v_mul_f64 v[6:7], v[50:51], v[52:53]
	v_fma_f64 v[38:39], v[38:39], v[226:227], -v[2:3]
	v_fma_f64 v[42:43], v[48:49], v[54:55], -v[6:7]
	v_mul_f64 v[6:7], v[46:47], v[56:57]
	v_add_f64 v[34:35], v[30:31], v[28:29]
	v_add_f64 v[40:41], v[38:39], v[36:37]
	v_fma_f64 v[44:45], v[44:45], v[58:59], -v[6:7]
	v_add_f64 v[54:55], v[0:1], v[4:5]
	v_add_f64 v[16:17], v[16:17], v[18:19]
	;; [unrolled: 1-line block ×10, first 2 shown]
	v_mov_b64_e32 v[48:49], v[2:3]
	v_mov_b64_e32 v[12:13], v[0:1]
	v_add_f64 v[20:21], v[20:21], -v[8:9]
	v_fmac_f64_e32 v[48:49], s[22:23], v[46:47]
	v_add_f64 v[46:47], v[34:35], -v[6:7]
	v_fmac_f64_e32 v[12:13], s[22:23], v[10:11]
	v_add_f64 v[10:11], v[54:55], -v[4:5]
	v_mul_f64 v[8:9], v[20:21], s[0:1]
	v_fma_f64 v[24:25], s[24:25], v[14:15], v[22:23]
	v_mul_f64 v[46:47], v[46:47], s[10:11]
	v_mul_f64 v[18:19], v[10:11], s[10:11]
	v_add_f64 v[4:5], v[4:5], -v[16:17]
	v_fma_f64 v[60:61], v[14:15], s[20:21], -v[8:9]
	v_add_f64 v[14:15], v[40:41], -v[34:35]
	v_mul_f64 v[56:57], v[4:5], s[12:13]
	v_fma_f64 v[4:5], s[12:13], v[4:5], v[18:19]
	v_add_f64 v[28:29], v[30:31], -v[28:29]
	v_add_f64 v[36:37], v[38:39], -v[36:37]
	v_fma_f64 v[8:9], v[14:15], s[16:17], -v[46:47]
	v_add_f64 v[16:17], v[16:17], -v[54:55]
	v_add_f64 v[6:7], v[6:7], -v[40:41]
	v_add_f64 v[58:59], v[4:5], v[12:13]
	v_add_f64 v[4:5], v[44:45], -v[42:43]
	v_add_f64 v[34:35], v[8:9], v[48:49]
	v_fma_f64 v[8:9], v[16:17], s[16:17], -v[18:19]
	v_add_f64 v[18:19], v[36:37], -v[28:29]
	v_mul_f64 v[50:51], v[6:7], s[12:13]
	v_add_f64 v[30:31], v[28:29], -v[4:5]
	v_add_f64 v[10:11], v[4:5], -v[36:37]
	v_add_f64 v[4:5], v[4:5], v[36:37]
	v_add_f64 v[40:41], v[8:9], v[12:13]
	v_mul_f64 v[8:9], v[18:19], s[0:1]
	v_mul_f64 v[38:39], v[10:11], s[14:15]
	v_add_f64 v[44:45], v[4:5], v[28:29]
	v_fma_f64 v[28:29], v[30:31], s[20:21], -v[8:9]
	v_fma_f64 v[14:15], v[14:15], s[8:9], -v[50:51]
	;; [unrolled: 1-line block ×3, first 2 shown]
	v_fma_f64 v[42:43], s[24:25], v[30:31], v[38:39]
	v_fmac_f64_e32 v[28:29], s[18:19], v[44:45]
	v_add_f64 v[30:31], v[14:15], v[48:49]
	v_fmac_f64_e32 v[20:21], s[18:19], v[26:27]
	v_add_f64 v[8:9], v[40:41], -v[28:29]
	v_add_f64 v[14:15], v[30:31], -v[20:21]
	v_fma_f64 v[22:23], v[18:19], s[0:1], -v[38:39]
	v_add_f64 v[18:19], v[20:21], v[30:31]
	v_add_f64 v[20:21], v[28:29], v[40:41]
	s_movk_i32 s0, 0x77
	v_accvgpr_read_b32 v28, a1
	v_accvgpr_read_b32 v29, a3
	v_fma_f64 v[6:7], s[12:13], v[6:7], v[46:47]
	v_fma_f64 v[16:17], v[16:17], s[8:9], -v[56:57]
	v_mad_legacy_u16 v28, v28, s0, v29
	v_fmac_f64_e32 v[24:25], s[18:19], v[26:27]
	v_add_f64 v[52:53], v[6:7], v[48:49]
	v_fmac_f64_e32 v[42:43], s[18:19], v[44:45]
	v_fmac_f64_e32 v[60:61], s[18:19], v[26:27]
	v_add_f64 v[16:17], v[16:17], v[12:13]
	v_fmac_f64_e32 v[22:23], s[18:19], v[44:45]
	v_lshlrev_b32_e32 v28, 4, v28
	v_add_f64 v[6:7], v[24:25], v[52:53]
	v_add_f64 v[4:5], v[58:59], -v[42:43]
	v_add_f64 v[10:11], v[60:61], v[34:35]
	v_add_f64 v[12:13], v[22:23], v[16:17]
	v_add_f64 v[16:17], v[16:17], -v[22:23]
	v_add_f64 v[22:23], v[34:35], -v[60:61]
	;; [unrolled: 1-line block ×3, first 2 shown]
	v_add_f64 v[24:25], v[42:43], v[58:59]
	ds_write_b128 v28, v[0:3]
	ds_write_b128 v28, v[24:27] offset:272
	ds_write_b128 v28, v[20:23] offset:544
	;; [unrolled: 1-line block ×6, first 2 shown]
.LBB0_9:
	s_or_b64 exec, exec, s[26:27]
	s_waitcnt lgkmcnt(0)
	s_barrier
	ds_read_b128 v[72:75], v32
	ds_read_b128 v[6:9], v32 offset:1904
	ds_read_b128 v[10:13], v32 offset:3808
	;; [unrolled: 1-line block ×16, first 2 shown]
	s_waitcnt lgkmcnt(14)
	v_mul_f64 v[106:107], v[154:155], v[8:9]
	v_fmac_f64_e32 v[106:107], v[152:153], v[6:7]
	v_mul_f64 v[6:7], v[154:155], v[6:7]
	v_fma_f64 v[108:109], v[152:153], v[8:9], -v[6:7]
	v_mul_f64 v[6:7], v[150:151], v[10:11]
	v_mul_f64 v[98:99], v[150:151], v[12:13]
	v_fma_f64 v[100:101], v[148:149], v[12:13], -v[6:7]
	s_waitcnt lgkmcnt(7)
	v_mul_f64 v[12:13], v[202:203], v[42:43]
	v_fmac_f64_e32 v[98:99], v[148:149], v[10:11]
	v_mul_f64 v[6:7], v[146:147], v[14:15]
	v_mul_f64 v[10:11], v[202:203], v[44:45]
	v_fma_f64 v[12:13], v[200:201], v[44:45], -v[12:13]
	v_add_f64 v[44:45], v[74:75], v[108:109]
	v_mul_f64 v[90:91], v[146:147], v[16:17]
	v_fma_f64 v[92:93], v[144:145], v[16:17], -v[6:7]
	v_mul_f64 v[6:7], v[142:143], v[18:19]
	v_fmac_f64_e32 v[10:11], v[200:201], v[42:43]
	v_add_f64 v[42:43], v[72:73], v[106:107]
	v_add_f64 v[44:45], v[44:45], v[100:101]
	v_fmac_f64_e32 v[90:91], v[144:145], v[14:15]
	v_mul_f64 v[82:83], v[142:143], v[20:21]
	v_fma_f64 v[84:85], v[140:141], v[20:21], -v[6:7]
	v_mul_f64 v[6:7], v[178:179], v[22:23]
	v_add_f64 v[42:43], v[42:43], v[98:99]
	v_add_f64 v[44:45], v[44:45], v[92:93]
	v_fmac_f64_e32 v[82:83], v[140:141], v[18:19]
	v_mul_f64 v[30:31], v[178:179], v[24:25]
	v_fma_f64 v[76:77], v[176:177], v[24:25], -v[6:7]
	v_mul_f64 v[6:7], v[174:175], v[26:27]
	;; [unrolled: 6-line block ×4, first 2 shown]
	v_add_f64 v[42:43], v[42:43], v[30:31]
	v_add_f64 v[44:45], v[44:45], v[24:25]
	v_fmac_f64_e32 v[14:15], v[168:169], v[34:35]
	v_mul_f64 v[6:7], v[166:167], v[40:41]
	v_fma_f64 v[8:9], v[164:165], v[40:41], -v[8:9]
	v_add_f64 v[42:43], v[42:43], v[22:23]
	v_add_f64 v[44:45], v[44:45], v[16:17]
	v_fmac_f64_e32 v[6:7], v[164:165], v[38:39]
	s_waitcnt lgkmcnt(6)
	v_mul_f64 v[20:21], v[198:199], v[46:47]
	v_add_f64 v[42:43], v[42:43], v[14:15]
	v_add_f64 v[44:45], v[44:45], v[8:9]
	v_mul_f64 v[18:19], v[198:199], v[48:49]
	v_fma_f64 v[20:21], v[196:197], v[48:49], -v[20:21]
	s_waitcnt lgkmcnt(5)
	v_mul_f64 v[28:29], v[194:195], v[50:51]
	v_add_f64 v[42:43], v[42:43], v[6:7]
	v_add_f64 v[44:45], v[44:45], v[12:13]
	v_fmac_f64_e32 v[18:19], v[196:197], v[46:47]
	v_mul_f64 v[26:27], v[194:195], v[52:53]
	v_fma_f64 v[28:29], v[192:193], v[52:53], -v[28:29]
	s_waitcnt lgkmcnt(4)
	v_mul_f64 v[34:35], v[190:191], v[54:55]
	v_add_f64 v[42:43], v[42:43], v[10:11]
	v_add_f64 v[44:45], v[44:45], v[20:21]
	v_fmac_f64_e32 v[26:27], v[192:193], v[50:51]
	;; [unrolled: 7-line block ×4, first 2 shown]
	v_mul_f64 v[94:95], v[214:215], v[64:65]
	v_fma_f64 v[96:97], v[212:213], v[64:65], -v[34:35]
	s_waitcnt lgkmcnt(1)
	v_mul_f64 v[36:37], v[210:211], v[66:67]
	v_add_f64 v[42:43], v[42:43], v[78:79]
	v_add_f64 v[44:45], v[44:45], v[88:89]
	v_accvgpr_read_b32 v156, a2
	v_fmac_f64_e32 v[94:95], v[212:213], v[62:63]
	v_mul_f64 v[34:35], v[210:211], v[68:69]
	v_fma_f64 v[36:37], v[208:209], v[68:69], -v[36:37]
	s_waitcnt lgkmcnt(0)
	v_mul_f64 v[40:41], v[206:207], v[102:103]
	v_add_f64 v[42:43], v[42:43], v[86:87]
	v_add_f64 v[44:45], v[44:45], v[96:97]
	v_mov_b32_e32 v0, s2
	v_mov_b32_e32 v1, s3
	v_mad_u64_u32 v[2:3], s[0:1], s6, v156, 0
	v_fmac_f64_e32 v[34:35], v[208:209], v[66:67]
	v_mul_f64 v[38:39], v[206:207], v[104:105]
	v_fma_f64 v[40:41], v[204:205], v[104:105], -v[40:41]
	v_add_f64 v[42:43], v[42:43], v[94:95]
	v_add_f64 v[44:45], v[44:45], v[36:37]
	s_mov_b32 s26, 0x370991
	s_mov_b32 s18, 0x75d4884
	;; [unrolled: 1-line block ×8, first 2 shown]
	v_fmac_f64_e32 v[38:39], v[204:205], v[102:103]
	v_add_f64 v[42:43], v[42:43], v[34:35]
	v_add_f64 v[70:71], v[44:45], v[40:41]
	;; [unrolled: 1-line block ×3, first 2 shown]
	s_mov_b32 s24, 0x5d8e7cdc
	s_mov_b32 s27, 0x3fedd6d0
	;; [unrolled: 1-line block ×16, first 2 shown]
	v_add_f64 v[68:69], v[42:43], v[38:39]
	v_add_f64 v[42:43], v[106:107], v[38:39]
	v_add_f64 v[38:39], v[106:107], -v[38:39]
	v_add_f64 v[40:41], v[108:109], -v[40:41]
	s_mov_b32 s25, 0xbfd71e95
	v_mul_f64 v[50:51], v[44:45], s[26:27]
	s_mov_b32 s17, 0xbfe58eea
	v_mul_f64 v[58:59], v[44:45], s[18:19]
	;; [unrolled: 2-line block ×9, first 2 shown]
	s_mov_b32 s31, 0x3fd71e95
	s_mov_b32 s30, s24
	v_mul_f64 v[54:55], v[40:41], s[16:17]
	s_mov_b32 s21, 0x3fe58eea
	s_mov_b32 s20, s16
	v_mul_f64 v[62:63], v[40:41], s[10:11]
	;; [unrolled: 3-line block ×6, first 2 shown]
	s_mov_b32 s46, s42
	v_mul_f64 v[40:41], v[40:41], s[48:49]
	v_fma_f64 v[138:139], s[52:53], v[38:39], v[44:45]
	v_fmac_f64_e32 v[44:45], s[48:49], v[38:39]
	v_fma_f64 v[48:49], s[26:27], v[42:43], v[46:47]
	v_fma_f64 v[52:53], s[30:31], v[38:39], v[50:51]
	v_fma_f64 v[46:47], v[42:43], s[26:27], -v[46:47]
	v_fmac_f64_e32 v[50:51], s[24:25], v[38:39]
	v_fma_f64 v[56:57], s[18:19], v[42:43], v[54:55]
	v_fma_f64 v[60:61], s[20:21], v[38:39], v[58:59]
	v_fma_f64 v[54:55], v[42:43], s[18:19], -v[54:55]
	;; [unrolled: 4-line block ×7, first 2 shown]
	v_fmac_f64_e32 v[132:133], s[42:43], v[38:39]
	v_fma_f64 v[136:137], s[50:51], v[42:43], v[40:41]
	v_fma_f64 v[40:41], v[42:43], s[50:51], -v[40:41]
	v_add_f64 v[38:39], v[74:75], v[44:45]
	v_add_f64 v[44:45], v[100:101], v[36:37]
	v_add_f64 v[36:37], v[100:101], -v[36:37]
	v_add_f64 v[48:49], v[72:73], v[48:49]
	v_add_f64 v[46:47], v[72:73], v[46:47]
	;; [unrolled: 1-line block ×17, first 2 shown]
	v_mul_f64 v[72:73], v[36:37], s[16:17]
	v_add_f64 v[52:53], v[74:75], v[52:53]
	v_add_f64 v[50:51], v[74:75], v[50:51]
	;; [unrolled: 1-line block ×15, first 2 shown]
	v_fma_f64 v[74:75], s[18:19], v[42:43], v[72:73]
	v_add_f64 v[34:35], v[98:99], -v[34:35]
	v_add_f64 v[48:49], v[74:75], v[48:49]
	v_mul_f64 v[74:75], v[44:45], s[18:19]
	v_fma_f64 v[72:73], v[42:43], s[18:19], -v[72:73]
	v_fma_f64 v[98:99], s[20:21], v[34:35], v[74:75]
	v_add_f64 v[46:47], v[72:73], v[46:47]
	v_fmac_f64_e32 v[74:75], s[16:17], v[34:35]
	v_mul_f64 v[72:73], v[36:37], s[0:1]
	v_add_f64 v[50:51], v[74:75], v[50:51]
	v_fma_f64 v[74:75], s[2:3], v[42:43], v[72:73]
	v_add_f64 v[56:57], v[74:75], v[56:57]
	v_mul_f64 v[74:75], v[44:45], s[2:3]
	v_fma_f64 v[72:73], v[42:43], s[2:3], -v[72:73]
	v_add_f64 v[52:53], v[98:99], v[52:53]
	v_fma_f64 v[98:99], s[8:9], v[34:35], v[74:75]
	v_add_f64 v[54:55], v[72:73], v[54:55]
	v_fmac_f64_e32 v[74:75], s[0:1], v[34:35]
	v_mul_f64 v[72:73], v[36:37], s[36:37]
	v_add_f64 v[58:59], v[74:75], v[58:59]
	v_fma_f64 v[74:75], s[38:39], v[42:43], v[72:73]
	v_add_f64 v[64:65], v[74:75], v[64:65]
	v_mul_f64 v[74:75], v[44:45], s[38:39]
	v_fma_f64 v[72:73], v[42:43], s[38:39], -v[72:73]
	v_add_f64 v[60:61], v[98:99], v[60:61]
	v_fma_f64 v[98:99], s[40:41], v[34:35], v[74:75]
	v_add_f64 v[62:63], v[72:73], v[62:63]
	v_fmac_f64_e32 v[74:75], s[36:37], v[34:35]
	v_mul_f64 v[72:73], v[36:37], s[48:49]
	v_add_f64 v[66:67], v[74:75], v[66:67]
	v_fma_f64 v[74:75], s[50:51], v[42:43], v[72:73]
	v_mul_f64 v[100:101], v[44:45], s[50:51]
	v_fma_f64 v[72:73], v[42:43], s[50:51], -v[72:73]
	v_add_f64 v[98:99], v[98:99], v[102:103]
	v_fma_f64 v[102:103], s[52:53], v[34:35], v[100:101]
	v_add_f64 v[72:73], v[72:73], v[104:105]
	v_fmac_f64_e32 v[100:101], s[48:49], v[34:35]
	v_mul_f64 v[104:105], v[36:37], s[46:47]
	v_add_f64 v[74:75], v[74:75], v[106:107]
	v_add_f64 v[100:101], v[100:101], v[108:109]
	v_fma_f64 v[106:107], s[44:45], v[42:43], v[104:105]
	v_mul_f64 v[108:109], v[44:45], s[44:45]
	v_fma_f64 v[104:105], v[42:43], s[44:45], -v[104:105]
	v_add_f64 v[102:103], v[102:103], v[110:111]
	v_fma_f64 v[110:111], s[42:43], v[34:35], v[108:109]
	v_add_f64 v[104:105], v[104:105], v[112:113]
	v_fmac_f64_e32 v[108:109], s[46:47], v[34:35]
	v_mul_f64 v[112:113], v[36:37], s[34:35]
	v_add_f64 v[106:107], v[106:107], v[114:115]
	;; [unrolled: 10-line block ×3, first 2 shown]
	v_add_f64 v[116:117], v[116:117], v[124:125]
	v_fma_f64 v[122:123], s[12:13], v[42:43], v[120:121]
	v_mul_f64 v[124:125], v[44:45], s[12:13]
	v_mul_f64 v[44:45], v[44:45], s[26:27]
	v_add_f64 v[122:123], v[122:123], v[130:131]
	v_fma_f64 v[130:131], s[24:25], v[34:35], v[44:45]
	v_fmac_f64_e32 v[44:45], s[30:31], v[34:35]
	v_add_f64 v[118:119], v[118:119], v[126:127]
	v_fma_f64 v[126:127], s[10:11], v[34:35], v[124:125]
	v_fma_f64 v[120:121], v[42:43], s[12:13], -v[120:121]
	v_fmac_f64_e32 v[124:125], s[14:15], v[34:35]
	v_mul_f64 v[36:37], v[36:37], s[30:31]
	v_add_f64 v[34:35], v[44:45], v[38:39]
	v_add_f64 v[44:45], v[92:93], -v[96:97]
	v_add_f64 v[120:121], v[120:121], v[128:129]
	v_fma_f64 v[128:129], s[26:27], v[42:43], v[36:37]
	v_fma_f64 v[36:37], v[42:43], s[26:27], -v[36:37]
	v_add_f64 v[38:39], v[90:91], v[94:95]
	v_add_f64 v[42:43], v[90:91], -v[94:95]
	v_mul_f64 v[90:91], v[44:45], s[10:11]
	v_add_f64 v[36:37], v[36:37], v[40:41]
	v_add_f64 v[40:41], v[92:93], v[96:97]
	v_fma_f64 v[92:93], s[12:13], v[38:39], v[90:91]
	v_add_f64 v[48:49], v[92:93], v[48:49]
	v_mul_f64 v[92:93], v[40:41], s[12:13]
	v_fma_f64 v[90:91], v[38:39], s[12:13], -v[90:91]
	v_fma_f64 v[94:95], s[14:15], v[42:43], v[92:93]
	v_add_f64 v[46:47], v[90:91], v[46:47]
	v_fmac_f64_e32 v[92:93], s[10:11], v[42:43]
	v_mul_f64 v[90:91], v[44:45], s[36:37]
	v_add_f64 v[50:51], v[92:93], v[50:51]
	v_fma_f64 v[92:93], s[38:39], v[38:39], v[90:91]
	v_add_f64 v[56:57], v[92:93], v[56:57]
	v_mul_f64 v[92:93], v[40:41], s[38:39]
	v_fma_f64 v[90:91], v[38:39], s[38:39], -v[90:91]
	v_add_f64 v[52:53], v[94:95], v[52:53]
	v_fma_f64 v[94:95], s[40:41], v[42:43], v[92:93]
	v_add_f64 v[54:55], v[90:91], v[54:55]
	v_fmac_f64_e32 v[92:93], s[36:37], v[42:43]
	v_mul_f64 v[90:91], v[44:45], s[52:53]
	v_add_f64 v[58:59], v[92:93], v[58:59]
	v_fma_f64 v[92:93], s[50:51], v[38:39], v[90:91]
	v_add_f64 v[64:65], v[92:93], v[64:65]
	v_mul_f64 v[92:93], v[40:41], s[50:51]
	v_fma_f64 v[90:91], v[38:39], s[50:51], -v[90:91]
	v_add_f64 v[60:61], v[94:95], v[60:61]
	v_fma_f64 v[94:95], s[48:49], v[42:43], v[92:93]
	v_add_f64 v[62:63], v[90:91], v[62:63]
	v_fmac_f64_e32 v[92:93], s[52:53], v[42:43]
	v_mul_f64 v[90:91], v[44:45], s[34:35]
	v_add_f64 v[66:67], v[92:93], v[66:67]
	v_fma_f64 v[92:93], s[28:29], v[38:39], v[90:91]
	v_add_f64 v[74:75], v[92:93], v[74:75]
	v_mul_f64 v[92:93], v[40:41], s[28:29]
	v_fma_f64 v[96:97], s[22:23], v[42:43], v[92:93]
	v_fma_f64 v[90:91], v[38:39], s[28:29], -v[90:91]
	v_fmac_f64_e32 v[92:93], s[34:35], v[42:43]
	v_add_f64 v[72:73], v[90:91], v[72:73]
	v_add_f64 v[90:91], v[92:93], v[100:101]
	v_mul_f64 v[92:93], v[44:45], s[20:21]
	v_add_f64 v[94:95], v[94:95], v[98:99]
	v_fma_f64 v[98:99], s[18:19], v[38:39], v[92:93]
	v_fma_f64 v[92:93], v[38:39], s[18:19], -v[92:93]
	v_mul_f64 v[100:101], v[40:41], s[18:19]
	v_add_f64 v[92:93], v[92:93], v[104:105]
	v_mul_f64 v[104:105], v[44:45], s[24:25]
	v_add_f64 v[96:97], v[96:97], v[102:103]
	v_add_f64 v[98:99], v[98:99], v[106:107]
	v_fma_f64 v[102:103], s[16:17], v[42:43], v[100:101]
	v_fmac_f64_e32 v[100:101], s[20:21], v[42:43]
	v_fma_f64 v[106:107], s[26:27], v[38:39], v[104:105]
	v_fma_f64 v[104:105], v[38:39], s[26:27], -v[104:105]
	v_add_f64 v[100:101], v[100:101], v[108:109]
	v_mul_f64 v[108:109], v[40:41], s[26:27]
	v_add_f64 v[104:105], v[104:105], v[112:113]
	v_mul_f64 v[112:113], v[44:45], s[0:1]
	v_add_f64 v[102:103], v[102:103], v[110:111]
	v_add_f64 v[106:107], v[106:107], v[114:115]
	v_fma_f64 v[110:111], s[30:31], v[42:43], v[108:109]
	v_fmac_f64_e32 v[108:109], s[24:25], v[42:43]
	v_fma_f64 v[114:115], s[2:3], v[38:39], v[112:113]
	v_fma_f64 v[112:113], v[38:39], s[2:3], -v[112:113]
	v_mul_f64 v[44:45], v[44:45], s[42:43]
	v_add_f64 v[108:109], v[108:109], v[116:117]
	v_mul_f64 v[116:117], v[40:41], s[2:3]
	v_add_f64 v[112:113], v[112:113], v[120:121]
	v_fma_f64 v[120:121], s[44:45], v[38:39], v[44:45]
	v_mul_f64 v[40:41], v[40:41], s[44:45]
	v_fma_f64 v[38:39], v[38:39], s[44:45], -v[44:45]
	v_add_f64 v[44:45], v[84:85], -v[88:89]
	v_add_f64 v[110:111], v[110:111], v[118:119]
	v_add_f64 v[114:115], v[114:115], v[122:123]
	v_fma_f64 v[118:119], s[8:9], v[42:43], v[116:117]
	v_fmac_f64_e32 v[116:117], s[0:1], v[42:43]
	v_fma_f64 v[122:123], s[46:47], v[42:43], v[40:41]
	v_add_f64 v[36:37], v[38:39], v[36:37]
	v_fmac_f64_e32 v[40:41], s[42:43], v[42:43]
	v_add_f64 v[38:39], v[82:83], v[86:87]
	v_add_f64 v[42:43], v[82:83], -v[86:87]
	v_mul_f64 v[82:83], v[44:45], s[0:1]
	v_add_f64 v[34:35], v[40:41], v[34:35]
	v_add_f64 v[40:41], v[84:85], v[88:89]
	v_fma_f64 v[84:85], s[2:3], v[38:39], v[82:83]
	v_add_f64 v[48:49], v[84:85], v[48:49]
	v_mul_f64 v[84:85], v[40:41], s[2:3]
	v_fma_f64 v[82:83], v[38:39], s[2:3], -v[82:83]
	v_fma_f64 v[86:87], s[8:9], v[42:43], v[84:85]
	v_add_f64 v[46:47], v[82:83], v[46:47]
	v_fmac_f64_e32 v[84:85], s[0:1], v[42:43]
	v_mul_f64 v[82:83], v[44:45], s[48:49]
	v_add_f64 v[50:51], v[84:85], v[50:51]
	v_fma_f64 v[84:85], s[50:51], v[38:39], v[82:83]
	v_add_f64 v[56:57], v[84:85], v[56:57]
	v_mul_f64 v[84:85], v[40:41], s[50:51]
	v_fma_f64 v[82:83], v[38:39], s[50:51], -v[82:83]
	v_add_f64 v[52:53], v[86:87], v[52:53]
	v_fma_f64 v[86:87], s[52:53], v[42:43], v[84:85]
	v_add_f64 v[54:55], v[82:83], v[54:55]
	v_fmac_f64_e32 v[84:85], s[48:49], v[42:43]
	v_mul_f64 v[82:83], v[44:45], s[34:35]
	v_add_f64 v[58:59], v[84:85], v[58:59]
	v_fma_f64 v[84:85], s[28:29], v[38:39], v[82:83]
	v_add_f64 v[64:65], v[84:85], v[64:65]
	v_mul_f64 v[84:85], v[40:41], s[28:29]
	v_fma_f64 v[82:83], v[38:39], s[28:29], -v[82:83]
	v_add_f64 v[60:61], v[86:87], v[60:61]
	v_fma_f64 v[86:87], s[22:23], v[42:43], v[84:85]
	v_add_f64 v[62:63], v[82:83], v[62:63]
	v_fmac_f64_e32 v[84:85], s[34:35], v[42:43]
	v_mul_f64 v[82:83], v[44:45], s[30:31]
	v_add_f64 v[66:67], v[84:85], v[66:67]
	v_fma_f64 v[84:85], s[26:27], v[38:39], v[82:83]
	v_add_f64 v[74:75], v[84:85], v[74:75]
	v_mul_f64 v[84:85], v[40:41], s[26:27]
	v_fma_f64 v[88:89], s[24:25], v[42:43], v[84:85]
	v_fma_f64 v[82:83], v[38:39], s[26:27], -v[82:83]
	v_fmac_f64_e32 v[84:85], s[30:31], v[42:43]
	v_add_f64 v[86:87], v[86:87], v[94:95]
	v_add_f64 v[72:73], v[82:83], v[72:73]
	;; [unrolled: 1-line block ×3, first 2 shown]
	v_mul_f64 v[84:85], v[44:45], s[10:11]
	v_mul_f64 v[94:95], v[40:41], s[12:13]
	v_add_f64 v[88:89], v[88:89], v[96:97]
	v_fma_f64 v[90:91], s[12:13], v[38:39], v[84:85]
	v_fma_f64 v[96:97], s[14:15], v[42:43], v[94:95]
	v_fma_f64 v[84:85], v[38:39], s[12:13], -v[84:85]
	v_fmac_f64_e32 v[94:95], s[10:11], v[42:43]
	v_add_f64 v[84:85], v[84:85], v[92:93]
	v_add_f64 v[92:93], v[94:95], v[100:101]
	v_mul_f64 v[94:95], v[44:45], s[42:43]
	v_add_f64 v[90:91], v[90:91], v[98:99]
	v_fma_f64 v[98:99], s[44:45], v[38:39], v[94:95]
	v_mul_f64 v[100:101], v[40:41], s[44:45]
	v_fma_f64 v[94:95], v[38:39], s[44:45], -v[94:95]
	v_add_f64 v[96:97], v[96:97], v[102:103]
	v_fma_f64 v[102:103], s[46:47], v[42:43], v[100:101]
	v_add_f64 v[94:95], v[94:95], v[104:105]
	v_fmac_f64_e32 v[100:101], s[42:43], v[42:43]
	v_mul_f64 v[104:105], v[44:45], s[40:41]
	v_add_f64 v[98:99], v[98:99], v[106:107]
	v_add_f64 v[100:101], v[100:101], v[108:109]
	v_fma_f64 v[106:107], s[38:39], v[38:39], v[104:105]
	v_mul_f64 v[108:109], v[40:41], s[38:39]
	v_fma_f64 v[104:105], v[38:39], s[38:39], -v[104:105]
	v_mul_f64 v[44:45], v[44:45], s[20:21]
	v_mul_f64 v[40:41], v[40:41], s[18:19]
	v_add_f64 v[102:103], v[102:103], v[110:111]
	v_add_f64 v[106:107], v[106:107], v[114:115]
	v_fma_f64 v[110:111], s[36:37], v[42:43], v[108:109]
	v_add_f64 v[104:105], v[104:105], v[112:113]
	v_fmac_f64_e32 v[108:109], s[40:41], v[42:43]
	v_fma_f64 v[112:113], s[18:19], v[38:39], v[44:45]
	v_fma_f64 v[114:115], s[16:17], v[42:43], v[40:41]
	v_fma_f64 v[38:39], v[38:39], s[18:19], -v[44:45]
	v_fmac_f64_e32 v[40:41], s[20:21], v[42:43]
	v_add_f64 v[42:43], v[76:77], -v[80:81]
	v_add_f64 v[36:37], v[38:39], v[36:37]
	v_add_f64 v[38:39], v[30:31], v[78:79]
	v_mul_f64 v[44:45], v[42:43], s[22:23]
	v_add_f64 v[34:35], v[40:41], v[34:35]
	v_add_f64 v[40:41], v[76:77], v[80:81]
	v_fma_f64 v[76:77], s[28:29], v[38:39], v[44:45]
	v_add_f64 v[30:31], v[30:31], -v[78:79]
	v_add_f64 v[48:49], v[76:77], v[48:49]
	v_mul_f64 v[76:77], v[40:41], s[28:29]
	v_fma_f64 v[78:79], s[34:35], v[30:31], v[76:77]
	v_fma_f64 v[44:45], v[38:39], s[28:29], -v[44:45]
	v_fmac_f64_e32 v[76:77], s[22:23], v[30:31]
	v_add_f64 v[44:45], v[44:45], v[46:47]
	v_add_f64 v[46:47], v[76:77], v[50:51]
	v_mul_f64 v[50:51], v[42:43], s[46:47]
	v_fma_f64 v[76:77], s[44:45], v[38:39], v[50:51]
	v_add_f64 v[56:57], v[76:77], v[56:57]
	v_mul_f64 v[76:77], v[40:41], s[44:45]
	v_add_f64 v[52:53], v[78:79], v[52:53]
	v_fma_f64 v[78:79], s[42:43], v[30:31], v[76:77]
	v_fma_f64 v[50:51], v[38:39], s[44:45], -v[50:51]
	v_fmac_f64_e32 v[76:77], s[46:47], v[30:31]
	v_add_f64 v[50:51], v[50:51], v[54:55]
	v_add_f64 v[54:55], v[76:77], v[58:59]
	v_mul_f64 v[58:59], v[42:43], s[20:21]
	v_fma_f64 v[76:77], s[18:19], v[38:39], v[58:59]
	v_add_f64 v[64:65], v[76:77], v[64:65]
	v_mul_f64 v[76:77], v[40:41], s[18:19]
	v_add_f64 v[60:61], v[78:79], v[60:61]
	v_fma_f64 v[78:79], s[16:17], v[30:31], v[76:77]
	v_fma_f64 v[58:59], v[38:39], s[18:19], -v[58:59]
	v_fmac_f64_e32 v[76:77], s[20:21], v[30:31]
	v_add_f64 v[58:59], v[58:59], v[62:63]
	v_add_f64 v[62:63], v[76:77], v[66:67]
	v_mul_f64 v[66:67], v[42:43], s[10:11]
	v_fma_f64 v[76:77], s[12:13], v[38:39], v[66:67]
	v_add_f64 v[74:75], v[76:77], v[74:75]
	v_mul_f64 v[76:77], v[40:41], s[12:13]
	v_fma_f64 v[80:81], s[14:15], v[30:31], v[76:77]
	v_fma_f64 v[66:67], v[38:39], s[12:13], -v[66:67]
	v_fmac_f64_e32 v[76:77], s[10:11], v[30:31]
	v_add_f64 v[78:79], v[78:79], v[86:87]
	v_add_f64 v[66:67], v[66:67], v[72:73]
	v_add_f64 v[72:73], v[76:77], v[82:83]
	v_mul_f64 v[76:77], v[42:43], s[48:49]
	v_mul_f64 v[86:87], v[40:41], s[50:51]
	v_add_f64 v[80:81], v[80:81], v[88:89]
	v_fma_f64 v[82:83], s[50:51], v[38:39], v[76:77]
	v_fma_f64 v[88:89], s[52:53], v[30:31], v[86:87]
	v_fma_f64 v[76:77], v[38:39], s[50:51], -v[76:77]
	v_fmac_f64_e32 v[86:87], s[48:49], v[30:31]
	v_add_f64 v[76:77], v[76:77], v[84:85]
	v_add_f64 v[84:85], v[86:87], v[92:93]
	v_mul_f64 v[86:87], v[42:43], s[8:9]
	v_add_f64 v[82:83], v[82:83], v[90:91]
	v_fma_f64 v[90:91], s[2:3], v[38:39], v[86:87]
	v_fma_f64 v[86:87], v[38:39], s[2:3], -v[86:87]
	v_mul_f64 v[92:93], v[40:41], s[2:3]
	v_add_f64 v[86:87], v[86:87], v[94:95]
	v_mul_f64 v[94:95], v[42:43], s[24:25]
	v_add_f64 v[88:89], v[88:89], v[96:97]
	v_add_f64 v[90:91], v[90:91], v[98:99]
	v_fma_f64 v[96:97], s[0:1], v[30:31], v[92:93]
	v_fmac_f64_e32 v[92:93], s[8:9], v[30:31]
	v_fma_f64 v[98:99], s[26:27], v[38:39], v[94:95]
	v_fma_f64 v[94:95], v[38:39], s[26:27], -v[94:95]
	v_mul_f64 v[42:43], v[42:43], s[36:37]
	v_add_f64 v[92:93], v[92:93], v[100:101]
	v_mul_f64 v[100:101], v[40:41], s[26:27]
	v_add_f64 v[94:95], v[94:95], v[104:105]
	v_fma_f64 v[104:105], s[38:39], v[38:39], v[42:43]
	v_mul_f64 v[40:41], v[40:41], s[38:39]
	v_fma_f64 v[38:39], v[38:39], s[38:39], -v[42:43]
	v_add_f64 v[98:99], v[98:99], v[106:107]
	v_fma_f64 v[106:107], s[40:41], v[30:31], v[40:41]
	v_add_f64 v[36:37], v[38:39], v[36:37]
	v_fmac_f64_e32 v[40:41], s[36:37], v[30:31]
	v_add_f64 v[38:39], v[24:25], v[28:29]
	v_add_f64 v[24:25], v[24:25], -v[28:29]
	v_add_f64 v[96:97], v[96:97], v[102:103]
	v_fma_f64 v[102:103], s[30:31], v[30:31], v[100:101]
	v_fmac_f64_e32 v[100:101], s[24:25], v[30:31]
	v_add_f64 v[30:31], v[40:41], v[34:35]
	v_add_f64 v[34:35], v[22:23], v[26:27]
	v_add_f64 v[22:23], v[22:23], -v[26:27]
	v_mul_f64 v[26:27], v[24:25], s[36:37]
	v_fma_f64 v[28:29], s[38:39], v[34:35], v[26:27]
	v_mul_f64 v[40:41], v[38:39], s[38:39]
	v_fma_f64 v[26:27], v[34:35], s[38:39], -v[26:27]
	v_fma_f64 v[42:43], s[40:41], v[22:23], v[40:41]
	v_add_f64 v[26:27], v[26:27], v[44:45]
	v_fmac_f64_e32 v[40:41], s[36:37], v[22:23]
	v_mul_f64 v[44:45], v[24:25], s[34:35]
	v_add_f64 v[28:29], v[28:29], v[48:49]
	v_add_f64 v[40:41], v[40:41], v[46:47]
	v_fma_f64 v[46:47], s[28:29], v[34:35], v[44:45]
	v_mul_f64 v[48:49], v[38:39], s[28:29]
	v_fma_f64 v[44:45], v[34:35], s[28:29], -v[44:45]
	v_add_f64 v[42:43], v[42:43], v[52:53]
	v_fma_f64 v[52:53], s[22:23], v[22:23], v[48:49]
	v_add_f64 v[44:45], v[44:45], v[50:51]
	v_fmac_f64_e32 v[48:49], s[34:35], v[22:23]
	v_mul_f64 v[50:51], v[24:25], s[24:25]
	v_add_f64 v[46:47], v[46:47], v[56:57]
	v_add_f64 v[48:49], v[48:49], v[54:55]
	v_fma_f64 v[54:55], s[26:27], v[34:35], v[50:51]
	v_mul_f64 v[56:57], v[38:39], s[26:27]
	v_fma_f64 v[50:51], v[34:35], s[26:27], -v[50:51]
	v_add_f64 v[52:53], v[52:53], v[60:61]
	;; [unrolled: 10-line block ×3, first 2 shown]
	v_add_f64 v[62:63], v[62:63], v[74:75]
	v_fma_f64 v[74:75], s[46:47], v[22:23], v[64:65]
	v_add_f64 v[58:59], v[58:59], v[66:67]
	v_fmac_f64_e32 v[64:65], s[42:43], v[22:23]
	v_mul_f64 v[66:67], v[24:25], s[8:9]
	v_mul_f64 v[78:79], v[38:39], s[2:3]
	v_add_f64 v[74:75], v[74:75], v[80:81]
	v_add_f64 v[64:65], v[64:65], v[72:73]
	v_fma_f64 v[72:73], s[2:3], v[34:35], v[66:67]
	v_fma_f64 v[80:81], s[0:1], v[22:23], v[78:79]
	v_fma_f64 v[66:67], v[34:35], s[2:3], -v[66:67]
	v_fmac_f64_e32 v[78:79], s[8:9], v[22:23]
	v_add_f64 v[66:67], v[66:67], v[76:77]
	v_add_f64 v[76:77], v[78:79], v[84:85]
	v_mul_f64 v[78:79], v[24:25], s[16:17]
	v_add_f64 v[72:73], v[72:73], v[82:83]
	v_fma_f64 v[82:83], s[18:19], v[34:35], v[78:79]
	v_mul_f64 v[84:85], v[38:39], s[18:19]
	v_fma_f64 v[78:79], v[34:35], s[18:19], -v[78:79]
	v_add_f64 v[80:81], v[80:81], v[88:89]
	v_fma_f64 v[88:89], s[20:21], v[22:23], v[84:85]
	v_add_f64 v[78:79], v[78:79], v[86:87]
	v_fmac_f64_e32 v[84:85], s[16:17], v[22:23]
	v_mul_f64 v[86:87], v[24:25], s[48:49]
	v_add_f64 v[82:83], v[82:83], v[90:91]
	v_add_f64 v[84:85], v[84:85], v[92:93]
	v_fma_f64 v[90:91], s[50:51], v[34:35], v[86:87]
	v_mul_f64 v[92:93], v[38:39], s[50:51]
	v_fma_f64 v[86:87], v[34:35], s[50:51], -v[86:87]
	v_mul_f64 v[24:25], v[24:25], s[14:15]
	v_mul_f64 v[38:39], v[38:39], s[12:13]
	v_add_f64 v[90:91], v[90:91], v[98:99]
	v_add_f64 v[86:87], v[86:87], v[94:95]
	v_fma_f64 v[94:95], s[12:13], v[34:35], v[24:25]
	v_fma_f64 v[98:99], s[10:11], v[22:23], v[38:39]
	v_fma_f64 v[24:25], v[34:35], s[12:13], -v[24:25]
	v_fmac_f64_e32 v[38:39], s[14:15], v[22:23]
	v_add_f64 v[34:35], v[16:17], v[20:21]
	v_add_f64 v[16:17], v[16:17], -v[20:21]
	v_add_f64 v[88:89], v[88:89], v[96:97]
	v_fma_f64 v[96:97], s[52:53], v[22:23], v[92:93]
	v_fmac_f64_e32 v[92:93], s[48:49], v[22:23]
	v_add_f64 v[22:23], v[38:39], v[30:31]
	v_add_f64 v[30:31], v[14:15], v[18:19]
	v_add_f64 v[14:15], v[14:15], -v[18:19]
	v_mul_f64 v[18:19], v[16:17], s[42:43]
	v_fma_f64 v[20:21], s[44:45], v[30:31], v[18:19]
	v_add_f64 v[20:21], v[20:21], v[28:29]
	v_mul_f64 v[28:29], v[34:35], s[44:45]
	v_add_f64 v[24:25], v[24:25], v[36:37]
	v_fma_f64 v[36:37], s[46:47], v[14:15], v[28:29]
	v_fma_f64 v[18:19], v[30:31], s[44:45], -v[18:19]
	v_fmac_f64_e32 v[28:29], s[42:43], v[14:15]
	v_add_f64 v[18:19], v[18:19], v[26:27]
	v_add_f64 v[26:27], v[28:29], v[40:41]
	v_mul_f64 v[28:29], v[16:17], s[14:15]
	v_fma_f64 v[38:39], s[12:13], v[30:31], v[28:29]
	v_mul_f64 v[40:41], v[34:35], s[12:13]
	v_fma_f64 v[28:29], v[30:31], s[12:13], -v[28:29]
	v_add_f64 v[36:37], v[36:37], v[42:43]
	v_fma_f64 v[42:43], s[10:11], v[14:15], v[40:41]
	v_add_f64 v[28:29], v[28:29], v[44:45]
	v_fmac_f64_e32 v[40:41], s[14:15], v[14:15]
	v_mul_f64 v[44:45], v[16:17], s[0:1]
	v_add_f64 v[38:39], v[38:39], v[46:47]
	v_add_f64 v[40:41], v[40:41], v[48:49]
	v_fma_f64 v[46:47], s[2:3], v[30:31], v[44:45]
	v_mul_f64 v[48:49], v[34:35], s[2:3]
	v_fma_f64 v[44:45], v[30:31], s[2:3], -v[44:45]
	v_add_f64 v[42:43], v[42:43], v[52:53]
	v_fma_f64 v[52:53], s[8:9], v[14:15], v[48:49]
	v_add_f64 v[44:45], v[44:45], v[50:51]
	v_fmac_f64_e32 v[48:49], s[0:1], v[14:15]
	v_mul_f64 v[50:51], v[16:17], s[40:41]
	v_add_f64 v[46:47], v[46:47], v[54:55]
	v_add_f64 v[48:49], v[48:49], v[56:57]
	;; [unrolled: 10-line block ×3, first 2 shown]
	v_fma_f64 v[62:63], s[26:27], v[30:31], v[58:59]
	v_mul_f64 v[64:65], v[34:35], s[26:27]
	v_add_f64 v[126:127], v[126:127], v[134:135]
	v_add_f64 v[62:63], v[62:63], v[72:73]
	v_fma_f64 v[72:73], s[30:31], v[14:15], v[64:65]
	v_fma_f64 v[58:59], v[30:31], s[26:27], -v[58:59]
	v_fmac_f64_e32 v[64:65], s[24:25], v[14:15]
	v_add_f64 v[124:125], v[124:125], v[132:133]
	v_add_f64 v[128:129], v[128:129], v[136:137]
	;; [unrolled: 1-line block ×6, first 2 shown]
	v_mul_f64 v[66:67], v[16:17], s[48:49]
	v_mul_f64 v[76:77], v[34:35], s[50:51]
	v_add_f64 v[116:117], v[116:117], v[124:125]
	v_add_f64 v[120:121], v[120:121], v[128:129]
	v_add_f64 v[122:123], v[122:123], v[130:131]
	v_add_f64 v[110:111], v[110:111], v[118:119]
	v_add_f64 v[60:61], v[60:61], v[74:75]
	v_add_f64 v[72:73], v[72:73], v[80:81]
	v_fma_f64 v[74:75], s[50:51], v[30:31], v[66:67]
	v_fma_f64 v[80:81], s[52:53], v[14:15], v[76:77]
	v_fma_f64 v[66:67], v[30:31], s[50:51], -v[66:67]
	v_fmac_f64_e32 v[76:77], s[48:49], v[14:15]
	v_add_f64 v[108:109], v[108:109], v[116:117]
	v_add_f64 v[112:113], v[112:113], v[120:121]
	;; [unrolled: 1-line block ×6, first 2 shown]
	v_mul_f64 v[78:79], v[16:17], s[20:21]
	v_mul_f64 v[84:85], v[34:35], s[18:19]
	v_add_f64 v[100:101], v[100:101], v[108:109]
	v_add_f64 v[104:105], v[104:105], v[112:113]
	;; [unrolled: 1-line block ×6, first 2 shown]
	v_fma_f64 v[82:83], s[18:19], v[30:31], v[78:79]
	v_fma_f64 v[88:89], s[16:17], v[14:15], v[84:85]
	v_fma_f64 v[78:79], v[30:31], s[18:19], -v[78:79]
	v_mul_f64 v[16:17], v[16:17], s[22:23]
	v_mul_f64 v[34:35], v[34:35], s[28:29]
	v_add_f64 v[92:93], v[92:93], v[100:101]
	v_add_f64 v[94:95], v[94:95], v[104:105]
	;; [unrolled: 1-line block ×6, first 2 shown]
	v_fma_f64 v[86:87], s[28:29], v[30:31], v[16:17]
	v_fma_f64 v[90:91], s[34:35], v[14:15], v[34:35]
	v_add_f64 v[96:97], v[8:9], v[12:13]
	v_add_f64 v[100:101], v[8:9], -v[12:13]
	v_add_f64 v[86:87], v[86:87], v[94:95]
	v_add_f64 v[90:91], v[90:91], v[98:99]
	;; [unrolled: 1-line block ×3, first 2 shown]
	v_add_f64 v[98:99], v[6:7], -v[10:11]
	v_mul_f64 v[10:11], v[100:101], s[48:49]
	v_mul_f64 v[12:13], v[96:97], s[50:51]
	v_fma_f64 v[6:7], s[50:51], v[94:95], v[10:11]
	v_fma_f64 v[8:9], s[52:53], v[98:99], v[12:13]
	v_fma_f64 v[10:11], v[94:95], s[50:51], -v[10:11]
	v_fmac_f64_e32 v[12:13], s[48:49], v[98:99]
	v_fmac_f64_e32 v[84:85], s[20:21], v[14:15]
	;; [unrolled: 1-line block ×3, first 2 shown]
	v_add_f64 v[10:11], v[10:11], v[18:19]
	v_add_f64 v[12:13], v[12:13], v[26:27]
	v_mul_f64 v[18:19], v[100:101], s[30:31]
	v_mul_f64 v[26:27], v[100:101], s[42:43]
	v_add_f64 v[84:85], v[84:85], v[92:93]
	v_fma_f64 v[16:17], v[30:31], s[28:29], -v[16:17]
	v_add_f64 v[92:93], v[34:35], v[22:23]
	v_add_f64 v[6:7], v[6:7], v[20:21]
	v_fma_f64 v[14:15], s[26:27], v[94:95], v[18:19]
	v_mul_f64 v[20:21], v[96:97], s[26:27]
	v_fma_f64 v[18:19], v[94:95], s[26:27], -v[18:19]
	v_fma_f64 v[22:23], s[44:45], v[94:95], v[26:27]
	v_add_f64 v[30:31], v[16:17], v[24:25]
	v_add_f64 v[14:15], v[14:15], v[38:39]
	v_fma_f64 v[16:17], s[24:25], v[98:99], v[20:21]
	v_add_f64 v[18:19], v[18:19], v[28:29]
	v_add_f64 v[22:23], v[22:23], v[46:47]
	v_mul_f64 v[28:29], v[96:97], s[44:45]
	v_mul_f64 v[38:39], v[100:101], s[20:21]
	;; [unrolled: 1-line block ×3, first 2 shown]
	v_add_f64 v[16:17], v[16:17], v[42:43]
	v_fmac_f64_e32 v[20:21], s[30:31], v[98:99]
	v_fma_f64 v[24:25], s[46:47], v[98:99], v[28:29]
	v_fmac_f64_e32 v[28:29], s[42:43], v[98:99]
	v_fma_f64 v[34:35], s[18:19], v[94:95], v[38:39]
	v_fma_f64 v[42:43], s[38:39], v[94:95], v[46:47]
	v_add_f64 v[20:21], v[20:21], v[40:41]
	v_fma_f64 v[26:27], v[94:95], s[44:45], -v[26:27]
	v_add_f64 v[28:29], v[28:29], v[48:49]
	v_add_f64 v[34:35], v[34:35], v[54:55]
	v_mul_f64 v[40:41], v[96:97], s[18:19]
	v_fma_f64 v[38:39], v[94:95], s[18:19], -v[38:39]
	v_add_f64 v[42:43], v[42:43], v[62:63]
	v_mul_f64 v[48:49], v[96:97], s[38:39]
	v_fma_f64 v[46:47], v[94:95], s[38:39], -v[46:47]
	v_mul_f64 v[54:55], v[100:101], s[14:15]
	v_mul_f64 v[62:63], v[100:101], s[22:23]
	v_add_f64 v[8:9], v[8:9], v[36:37]
	v_add_f64 v[26:27], v[26:27], v[44:45]
	v_fma_f64 v[36:37], s[16:17], v[98:99], v[40:41]
	v_add_f64 v[38:39], v[38:39], v[50:51]
	v_fmac_f64_e32 v[40:41], s[20:21], v[98:99]
	v_fma_f64 v[44:45], s[40:41], v[98:99], v[48:49]
	v_add_f64 v[46:47], v[46:47], v[58:59]
	v_fmac_f64_e32 v[48:49], s[36:37], v[98:99]
	v_fma_f64 v[50:51], s[12:13], v[94:95], v[54:55]
	v_fma_f64 v[54:55], v[94:95], s[12:13], -v[54:55]
	v_fma_f64 v[58:59], s[28:29], v[94:95], v[62:63]
	v_fma_f64 v[62:63], v[94:95], s[28:29], -v[62:63]
	v_add_f64 v[40:41], v[40:41], v[56:57]
	v_add_f64 v[48:49], v[48:49], v[64:65]
	v_mul_f64 v[56:57], v[96:97], s[12:13]
	v_add_f64 v[54:55], v[54:55], v[66:67]
	v_mul_f64 v[64:65], v[96:97], s[28:29]
	;; [unrolled: 2-line block ×3, first 2 shown]
	v_mul_f64 v[78:79], v[96:97], s[2:3]
	v_add_f64 v[24:25], v[24:25], v[52:53]
	v_add_f64 v[36:37], v[36:37], v[60:61]
	;; [unrolled: 1-line block ×4, first 2 shown]
	v_fma_f64 v[52:53], s[10:11], v[98:99], v[56:57]
	v_fmac_f64_e32 v[56:57], s[14:15], v[98:99]
	v_fma_f64 v[60:61], s[34:35], v[98:99], v[64:65]
	v_fmac_f64_e32 v[64:65], s[22:23], v[98:99]
	v_fma_f64 v[72:73], s[2:3], v[94:95], v[66:67]
	v_fma_f64 v[74:75], s[0:1], v[98:99], v[78:79]
	v_fma_f64 v[66:67], v[94:95], s[2:3], -v[66:67]
	v_fmac_f64_e32 v[78:79], s[8:9], v[98:99]
	v_add_f64 v[52:53], v[52:53], v[80:81]
	v_add_f64 v[56:57], v[56:57], v[76:77]
	;; [unrolled: 1-line block ×9, first 2 shown]
	ds_write_b128 v32, v[68:71]
	ds_write_b128 v32, v[6:9] offset:1904
	ds_write_b128 v32, v[14:17] offset:3808
	;; [unrolled: 1-line block ×16, first 2 shown]
	s_waitcnt lgkmcnt(0)
	s_barrier
	ds_read_b128 v[6:9], v32
	ds_read_b128 v[10:13], v32 offset:1904
	v_mov_b32_e32 v4, v3
	v_accvgpr_read_b32 v17, a7
	v_mad_u64_u32 v[4:5], s[0:1], s7, v156, v[4:5]
	v_accvgpr_read_b32 v16, a6
	v_mov_b32_e32 v3, v4
	v_accvgpr_read_b32 v15, a5
	v_accvgpr_read_b32 v14, a4
	s_waitcnt lgkmcnt(1)
	v_mul_f64 v[4:5], v[16:17], v[8:9]
	v_fmac_f64_e32 v[4:5], v[14:15], v[6:7]
	v_mul_f64 v[6:7], v[16:17], v[6:7]
	v_accvgpr_read_b32 v16, a0
	v_fma_f64 v[6:7], v[14:15], v[8:9], -v[6:7]
	v_mad_u64_u32 v[8:9], s[2:3], s4, v16, 0
	v_mov_b32_e32 v14, v9
	s_mov_b32 s0, 0x2e50bc4c
	v_mad_u64_u32 v[14:15], s[2:3], s5, v16, v[14:15]
	s_mov_b32 s1, 0x3f40329e
	v_mov_b32_e32 v9, v14
	v_lshl_add_u64 v[0:1], v[2:3], 4, v[0:1]
	v_mul_f64 v[4:5], v[4:5], s[0:1]
	v_mul_f64 v[6:7], v[6:7], s[0:1]
	v_lshl_add_u64 v[8:9], v[8:9], 4, v[0:1]
	global_store_dwordx4 v[8:9], v[4:7], off
	v_mov_b32_e32 v14, 0x770
	v_accvgpr_read_b32 v16, a64
	v_accvgpr_read_b32 v4, a68
	;; [unrolled: 1-line block ×5, first 2 shown]
	s_waitcnt lgkmcnt(0)
	v_mul_f64 v[0:1], v[6:7], v[12:13]
	v_mul_f64 v[2:3], v[6:7], v[10:11]
	v_fmac_f64_e32 v[0:1], v[4:5], v[10:11]
	v_fma_f64 v[2:3], v[4:5], v[12:13], -v[2:3]
	ds_read_b128 v[4:7], v32 offset:3808
	v_mad_u64_u32 v[12:13], s[2:3], s4, v14, v[8:9]
	s_mul_i32 s2, s5, 0x770
	v_mul_f64 v[0:1], v[0:1], s[0:1]
	v_mul_f64 v[2:3], v[2:3], s[0:1]
	v_add_u32_e32 v13, s2, v13
	v_accvgpr_read_b32 v18, a66
	v_accvgpr_read_b32 v19, a67
	global_store_dwordx4 v[12:13], v[0:3], off
	ds_read_b128 v[0:3], v32 offset:5712
	v_accvgpr_read_b32 v17, a65
	s_waitcnt lgkmcnt(1)
	v_mul_f64 v[8:9], v[18:19], v[6:7]
	v_fmac_f64_e32 v[8:9], v[16:17], v[4:5]
	v_mul_f64 v[4:5], v[18:19], v[4:5]
	v_fma_f64 v[4:5], v[16:17], v[6:7], -v[4:5]
	v_mad_u64_u32 v[12:13], s[6:7], s4, v14, v[12:13]
	v_mul_f64 v[8:9], v[8:9], s[0:1]
	v_mul_f64 v[10:11], v[4:5], s[0:1]
	v_add_u32_e32 v13, s2, v13
	global_store_dwordx4 v[12:13], v[8:11], off
	v_accvgpr_read_b32 v6, a60
	v_accvgpr_read_b32 v7, a61
	;; [unrolled: 1-line block ×4, first 2 shown]
	s_waitcnt lgkmcnt(0)
	v_mul_f64 v[4:5], v[8:9], v[2:3]
	v_fmac_f64_e32 v[4:5], v[6:7], v[0:1]
	v_mul_f64 v[0:1], v[8:9], v[0:1]
	v_fma_f64 v[0:1], v[6:7], v[2:3], -v[0:1]
	v_mul_f64 v[6:7], v[0:1], s[0:1]
	ds_read_b128 v[0:3], v32 offset:7616
	v_mad_u64_u32 v[12:13], s[6:7], s4, v14, v[12:13]
	v_accvgpr_read_b32 v16, a56
	v_mul_f64 v[4:5], v[4:5], s[0:1]
	v_add_u32_e32 v13, s2, v13
	v_accvgpr_read_b32 v18, a58
	v_accvgpr_read_b32 v19, a59
	global_store_dwordx4 v[12:13], v[4:7], off
	ds_read_b128 v[4:7], v32 offset:9520
	v_accvgpr_read_b32 v17, a57
	s_waitcnt lgkmcnt(1)
	v_mul_f64 v[8:9], v[18:19], v[2:3]
	v_fmac_f64_e32 v[8:9], v[16:17], v[0:1]
	v_mul_f64 v[0:1], v[18:19], v[0:1]
	v_fma_f64 v[0:1], v[16:17], v[2:3], -v[0:1]
	v_mad_u64_u32 v[12:13], s[6:7], s4, v14, v[12:13]
	v_mul_f64 v[8:9], v[8:9], s[0:1]
	v_mul_f64 v[10:11], v[0:1], s[0:1]
	v_add_u32_e32 v13, s2, v13
	global_store_dwordx4 v[12:13], v[8:11], off
	v_mad_u64_u32 v[12:13], s[6:7], s4, v14, v[12:13]
	s_nop 0
	v_accvgpr_read_b32 v8, a52
	v_accvgpr_read_b32 v10, a54
	;; [unrolled: 1-line block ×4, first 2 shown]
	s_waitcnt lgkmcnt(0)
	v_mul_f64 v[0:1], v[10:11], v[6:7]
	v_mul_f64 v[2:3], v[10:11], v[4:5]
	v_fmac_f64_e32 v[0:1], v[8:9], v[4:5]
	v_fma_f64 v[2:3], v[8:9], v[6:7], -v[2:3]
	ds_read_b128 v[4:7], v32 offset:11424
	v_accvgpr_read_b32 v16, a44
	v_mul_f64 v[0:1], v[0:1], s[0:1]
	v_mul_f64 v[2:3], v[2:3], s[0:1]
	v_add_u32_e32 v13, s2, v13
	v_accvgpr_read_b32 v18, a46
	v_accvgpr_read_b32 v19, a47
	global_store_dwordx4 v[12:13], v[0:3], off
	ds_read_b128 v[0:3], v32 offset:13328
	v_accvgpr_read_b32 v17, a45
	s_waitcnt lgkmcnt(1)
	v_mul_f64 v[8:9], v[18:19], v[6:7]
	v_fmac_f64_e32 v[8:9], v[16:17], v[4:5]
	v_mul_f64 v[4:5], v[18:19], v[4:5]
	v_fma_f64 v[4:5], v[16:17], v[6:7], -v[4:5]
	v_mad_u64_u32 v[12:13], s[6:7], s4, v14, v[12:13]
	v_mul_f64 v[8:9], v[8:9], s[0:1]
	v_mul_f64 v[10:11], v[4:5], s[0:1]
	v_add_u32_e32 v13, s2, v13
	global_store_dwordx4 v[12:13], v[8:11], off
	v_accvgpr_read_b32 v6, a32
	v_accvgpr_read_b32 v7, a33
	;; [unrolled: 1-line block ×4, first 2 shown]
	s_waitcnt lgkmcnt(0)
	v_mul_f64 v[4:5], v[8:9], v[2:3]
	v_fmac_f64_e32 v[4:5], v[6:7], v[0:1]
	v_mul_f64 v[0:1], v[8:9], v[0:1]
	v_fma_f64 v[0:1], v[6:7], v[2:3], -v[0:1]
	v_mul_f64 v[6:7], v[0:1], s[0:1]
	ds_read_b128 v[0:3], v32 offset:15232
	v_mad_u64_u32 v[12:13], s[6:7], s4, v14, v[12:13]
	v_accvgpr_read_b32 v19, a11
	v_mul_f64 v[4:5], v[4:5], s[0:1]
	v_add_u32_e32 v13, s2, v13
	v_accvgpr_read_b32 v18, a10
	global_store_dwordx4 v[12:13], v[4:7], off
	ds_read_b128 v[4:7], v32 offset:17136
	v_accvgpr_read_b32 v17, a9
	v_accvgpr_read_b32 v16, a8
	s_waitcnt lgkmcnt(1)
	v_mul_f64 v[8:9], v[18:19], v[2:3]
	v_fmac_f64_e32 v[8:9], v[16:17], v[0:1]
	v_mul_f64 v[0:1], v[18:19], v[0:1]
	v_fma_f64 v[0:1], v[16:17], v[2:3], -v[0:1]
	v_mad_u64_u32 v[12:13], s[6:7], s4, v14, v[12:13]
	v_mul_f64 v[8:9], v[8:9], s[0:1]
	v_mul_f64 v[10:11], v[0:1], s[0:1]
	v_add_u32_e32 v13, s2, v13
	global_store_dwordx4 v[12:13], v[8:11], off
	v_mad_u64_u32 v[12:13], s[6:7], s4, v14, v[12:13]
	s_nop 0
	v_accvgpr_read_b32 v8, a36
	v_accvgpr_read_b32 v10, a38
	;; [unrolled: 1-line block ×4, first 2 shown]
	s_waitcnt lgkmcnt(0)
	v_mul_f64 v[0:1], v[10:11], v[6:7]
	v_mul_f64 v[2:3], v[10:11], v[4:5]
	v_fmac_f64_e32 v[0:1], v[8:9], v[4:5]
	v_fma_f64 v[2:3], v[8:9], v[6:7], -v[2:3]
	ds_read_b128 v[4:7], v32 offset:19040
	v_accvgpr_read_b32 v19, a15
	v_mul_f64 v[0:1], v[0:1], s[0:1]
	v_mul_f64 v[2:3], v[2:3], s[0:1]
	v_add_u32_e32 v13, s2, v13
	v_accvgpr_read_b32 v18, a14
	global_store_dwordx4 v[12:13], v[0:3], off
	ds_read_b128 v[0:3], v32 offset:20944
	v_accvgpr_read_b32 v17, a13
	v_accvgpr_read_b32 v16, a12
	s_waitcnt lgkmcnt(1)
	v_mul_f64 v[8:9], v[18:19], v[6:7]
	v_fmac_f64_e32 v[8:9], v[16:17], v[4:5]
	v_mul_f64 v[4:5], v[18:19], v[4:5]
	v_fma_f64 v[4:5], v[16:17], v[6:7], -v[4:5]
	v_mad_u64_u32 v[12:13], s[6:7], s4, v14, v[12:13]
	v_mul_f64 v[8:9], v[8:9], s[0:1]
	v_mul_f64 v[10:11], v[4:5], s[0:1]
	v_add_u32_e32 v13, s2, v13
	global_store_dwordx4 v[12:13], v[8:11], off
	v_accvgpr_read_b32 v6, a40
	v_accvgpr_read_b32 v7, a41
	;; [unrolled: 1-line block ×4, first 2 shown]
	s_waitcnt lgkmcnt(0)
	v_mul_f64 v[4:5], v[8:9], v[2:3]
	v_fmac_f64_e32 v[4:5], v[6:7], v[0:1]
	v_mul_f64 v[0:1], v[8:9], v[0:1]
	v_fma_f64 v[0:1], v[6:7], v[2:3], -v[0:1]
	v_mul_f64 v[6:7], v[0:1], s[0:1]
	ds_read_b128 v[0:3], v32 offset:22848
	v_mad_u64_u32 v[12:13], s[6:7], s4, v14, v[12:13]
	v_accvgpr_read_b32 v16, a16
	v_mul_f64 v[4:5], v[4:5], s[0:1]
	v_add_u32_e32 v13, s2, v13
	v_accvgpr_read_b32 v18, a18
	v_accvgpr_read_b32 v19, a19
	global_store_dwordx4 v[12:13], v[4:7], off
	ds_read_b128 v[4:7], v32 offset:24752
	v_accvgpr_read_b32 v17, a17
	s_waitcnt lgkmcnt(1)
	v_mul_f64 v[8:9], v[18:19], v[2:3]
	v_fmac_f64_e32 v[8:9], v[16:17], v[0:1]
	v_mul_f64 v[0:1], v[18:19], v[0:1]
	v_fma_f64 v[0:1], v[16:17], v[2:3], -v[0:1]
	v_mad_u64_u32 v[12:13], s[6:7], s4, v14, v[12:13]
	v_mul_f64 v[8:9], v[8:9], s[0:1]
	v_mul_f64 v[10:11], v[0:1], s[0:1]
	v_add_u32_e32 v13, s2, v13
	global_store_dwordx4 v[12:13], v[8:11], off
	v_mad_u64_u32 v[12:13], s[6:7], s4, v14, v[12:13]
	s_nop 0
	v_accvgpr_read_b32 v8, a48
	v_accvgpr_read_b32 v10, a50
	;; [unrolled: 1-line block ×4, first 2 shown]
	s_waitcnt lgkmcnt(0)
	v_mul_f64 v[0:1], v[10:11], v[6:7]
	v_mul_f64 v[2:3], v[10:11], v[4:5]
	v_fmac_f64_e32 v[0:1], v[8:9], v[4:5]
	v_fma_f64 v[2:3], v[8:9], v[6:7], -v[2:3]
	ds_read_b128 v[4:7], v32 offset:26656
	v_accvgpr_read_b32 v16, a20
	v_mul_f64 v[0:1], v[0:1], s[0:1]
	v_mul_f64 v[2:3], v[2:3], s[0:1]
	v_add_u32_e32 v13, s2, v13
	v_accvgpr_read_b32 v18, a22
	v_accvgpr_read_b32 v19, a23
	global_store_dwordx4 v[12:13], v[0:3], off
	ds_read_b128 v[0:3], v32 offset:28560
	v_accvgpr_read_b32 v17, a21
	s_waitcnt lgkmcnt(1)
	v_mul_f64 v[8:9], v[18:19], v[6:7]
	v_fmac_f64_e32 v[8:9], v[16:17], v[4:5]
	v_mul_f64 v[4:5], v[18:19], v[4:5]
	v_fma_f64 v[4:5], v[16:17], v[6:7], -v[4:5]
	v_mad_u64_u32 v[12:13], s[6:7], s4, v14, v[12:13]
	v_mul_f64 v[8:9], v[8:9], s[0:1]
	v_mul_f64 v[10:11], v[4:5], s[0:1]
	v_add_u32_e32 v13, s2, v13
	global_store_dwordx4 v[12:13], v[8:11], off
	v_accvgpr_read_b32 v6, a24
	v_accvgpr_read_b32 v7, a25
	;; [unrolled: 1-line block ×4, first 2 shown]
	s_waitcnt lgkmcnt(0)
	v_mul_f64 v[4:5], v[8:9], v[2:3]
	v_fmac_f64_e32 v[4:5], v[6:7], v[0:1]
	v_mul_f64 v[0:1], v[8:9], v[0:1]
	v_fma_f64 v[0:1], v[6:7], v[2:3], -v[0:1]
	v_mul_f64 v[6:7], v[0:1], s[0:1]
	ds_read_b128 v[0:3], v32 offset:30464
	v_mad_u64_u32 v[8:9], s[6:7], s4, v14, v[12:13]
	v_accvgpr_read_b32 v10, a28
	v_mul_f64 v[4:5], v[4:5], s[0:1]
	v_add_u32_e32 v9, s2, v9
	v_accvgpr_read_b32 v12, a30
	v_accvgpr_read_b32 v13, a31
	global_store_dwordx4 v[8:9], v[4:7], off
	v_accvgpr_read_b32 v11, a29
	s_waitcnt lgkmcnt(0)
	v_mul_f64 v[4:5], v[12:13], v[2:3]
	v_fmac_f64_e32 v[4:5], v[10:11], v[0:1]
	v_mul_f64 v[0:1], v[12:13], v[0:1]
	v_fma_f64 v[0:1], v[10:11], v[2:3], -v[0:1]
	v_mul_f64 v[4:5], v[4:5], s[0:1]
	v_mul_f64 v[6:7], v[0:1], s[0:1]
	v_mad_u64_u32 v[0:1], s[0:1], s4, v14, v[8:9]
	v_add_u32_e32 v1, s2, v1
	global_store_dwordx4 v[0:1], v[4:7], off
.LBB0_10:
	s_endpgm
	.section	.rodata,"a",@progbits
	.p2align	6, 0x0
	.amdhsa_kernel bluestein_single_back_len2023_dim1_dp_op_CI_CI
		.amdhsa_group_segment_fixed_size 32368
		.amdhsa_private_segment_fixed_size 0
		.amdhsa_kernarg_size 104
		.amdhsa_user_sgpr_count 2
		.amdhsa_user_sgpr_dispatch_ptr 0
		.amdhsa_user_sgpr_queue_ptr 0
		.amdhsa_user_sgpr_kernarg_segment_ptr 1
		.amdhsa_user_sgpr_dispatch_id 0
		.amdhsa_user_sgpr_kernarg_preload_length 0
		.amdhsa_user_sgpr_kernarg_preload_offset 0
		.amdhsa_user_sgpr_private_segment_size 0
		.amdhsa_uses_dynamic_stack 0
		.amdhsa_enable_private_segment 0
		.amdhsa_system_sgpr_workgroup_id_x 1
		.amdhsa_system_sgpr_workgroup_id_y 0
		.amdhsa_system_sgpr_workgroup_id_z 0
		.amdhsa_system_sgpr_workgroup_info 0
		.amdhsa_system_vgpr_workitem_id 0
		.amdhsa_next_free_vgpr 364
		.amdhsa_next_free_sgpr 58
		.amdhsa_accum_offset 256
		.amdhsa_reserve_vcc 1
		.amdhsa_float_round_mode_32 0
		.amdhsa_float_round_mode_16_64 0
		.amdhsa_float_denorm_mode_32 3
		.amdhsa_float_denorm_mode_16_64 3
		.amdhsa_dx10_clamp 1
		.amdhsa_ieee_mode 1
		.amdhsa_fp16_overflow 0
		.amdhsa_tg_split 0
		.amdhsa_exception_fp_ieee_invalid_op 0
		.amdhsa_exception_fp_denorm_src 0
		.amdhsa_exception_fp_ieee_div_zero 0
		.amdhsa_exception_fp_ieee_overflow 0
		.amdhsa_exception_fp_ieee_underflow 0
		.amdhsa_exception_fp_ieee_inexact 0
		.amdhsa_exception_int_div_zero 0
	.end_amdhsa_kernel
	.text
.Lfunc_end0:
	.size	bluestein_single_back_len2023_dim1_dp_op_CI_CI, .Lfunc_end0-bluestein_single_back_len2023_dim1_dp_op_CI_CI
                                        ; -- End function
	.section	.AMDGPU.csdata,"",@progbits
; Kernel info:
; codeLenInByte = 36772
; NumSgprs: 64
; NumVgprs: 256
; NumAgprs: 108
; TotalNumVgprs: 364
; ScratchSize: 0
; MemoryBound: 0
; FloatMode: 240
; IeeeMode: 1
; LDSByteSize: 32368 bytes/workgroup (compile time only)
; SGPRBlocks: 7
; VGPRBlocks: 45
; NumSGPRsForWavesPerEU: 64
; NumVGPRsForWavesPerEU: 364
; AccumOffset: 256
; Occupancy: 1
; WaveLimiterHint : 1
; COMPUTE_PGM_RSRC2:SCRATCH_EN: 0
; COMPUTE_PGM_RSRC2:USER_SGPR: 2
; COMPUTE_PGM_RSRC2:TRAP_HANDLER: 0
; COMPUTE_PGM_RSRC2:TGID_X_EN: 1
; COMPUTE_PGM_RSRC2:TGID_Y_EN: 0
; COMPUTE_PGM_RSRC2:TGID_Z_EN: 0
; COMPUTE_PGM_RSRC2:TIDIG_COMP_CNT: 0
; COMPUTE_PGM_RSRC3_GFX90A:ACCUM_OFFSET: 63
; COMPUTE_PGM_RSRC3_GFX90A:TG_SPLIT: 0
	.text
	.p2alignl 6, 3212836864
	.fill 256, 4, 3212836864
	.type	__hip_cuid_5bc0113f23b5a118,@object ; @__hip_cuid_5bc0113f23b5a118
	.section	.bss,"aw",@nobits
	.globl	__hip_cuid_5bc0113f23b5a118
__hip_cuid_5bc0113f23b5a118:
	.byte	0                               ; 0x0
	.size	__hip_cuid_5bc0113f23b5a118, 1

	.ident	"AMD clang version 19.0.0git (https://github.com/RadeonOpenCompute/llvm-project roc-6.4.0 25133 c7fe45cf4b819c5991fe208aaa96edf142730f1d)"
	.section	".note.GNU-stack","",@progbits
	.addrsig
	.addrsig_sym __hip_cuid_5bc0113f23b5a118
	.amdgpu_metadata
---
amdhsa.kernels:
  - .agpr_count:     108
    .args:
      - .actual_access:  read_only
        .address_space:  global
        .offset:         0
        .size:           8
        .value_kind:     global_buffer
      - .actual_access:  read_only
        .address_space:  global
        .offset:         8
        .size:           8
        .value_kind:     global_buffer
      - .actual_access:  read_only
        .address_space:  global
        .offset:         16
        .size:           8
        .value_kind:     global_buffer
      - .actual_access:  read_only
        .address_space:  global
        .offset:         24
        .size:           8
        .value_kind:     global_buffer
      - .actual_access:  read_only
        .address_space:  global
        .offset:         32
        .size:           8
        .value_kind:     global_buffer
      - .offset:         40
        .size:           8
        .value_kind:     by_value
      - .address_space:  global
        .offset:         48
        .size:           8
        .value_kind:     global_buffer
      - .address_space:  global
        .offset:         56
        .size:           8
        .value_kind:     global_buffer
      - .address_space:  global
        .offset:         64
        .size:           8
        .value_kind:     global_buffer
      - .address_space:  global
        .offset:         72
        .size:           8
        .value_kind:     global_buffer
      - .offset:         80
        .size:           4
        .value_kind:     by_value
      - .address_space:  global
        .offset:         88
        .size:           8
        .value_kind:     global_buffer
      - .address_space:  global
        .offset:         96
        .size:           8
        .value_kind:     global_buffer
    .group_segment_fixed_size: 32368
    .kernarg_segment_align: 8
    .kernarg_segment_size: 104
    .language:       OpenCL C
    .language_version:
      - 2
      - 0
    .max_flat_workgroup_size: 119
    .name:           bluestein_single_back_len2023_dim1_dp_op_CI_CI
    .private_segment_fixed_size: 0
    .sgpr_count:     64
    .sgpr_spill_count: 0
    .symbol:         bluestein_single_back_len2023_dim1_dp_op_CI_CI.kd
    .uniform_work_group_size: 1
    .uses_dynamic_stack: false
    .vgpr_count:     364
    .vgpr_spill_count: 0
    .wavefront_size: 64
amdhsa.target:   amdgcn-amd-amdhsa--gfx950
amdhsa.version:
  - 1
  - 2
...

	.end_amdgpu_metadata
